;; amdgpu-corpus repo=ROCm/hipCUB kind=compiled arch=gfx1250 opt=O3
	.amdgcn_target "amdgcn-amd-amdhsa--gfx1250"
	.amdhsa_code_object_version 6
	.section	.text._Z17warp_store_kernelILj1024ELj4ELj64ELN6hipcub18WarpStoreAlgorithmE3EiEvPT3_S3_,"axG",@progbits,_Z17warp_store_kernelILj1024ELj4ELj64ELN6hipcub18WarpStoreAlgorithmE3EiEvPT3_S3_,comdat
	.protected	_Z17warp_store_kernelILj1024ELj4ELj64ELN6hipcub18WarpStoreAlgorithmE3EiEvPT3_S3_ ; -- Begin function _Z17warp_store_kernelILj1024ELj4ELj64ELN6hipcub18WarpStoreAlgorithmE3EiEvPT3_S3_
	.globl	_Z17warp_store_kernelILj1024ELj4ELj64ELN6hipcub18WarpStoreAlgorithmE3EiEvPT3_S3_
	.p2align	8
	.type	_Z17warp_store_kernelILj1024ELj4ELj64ELN6hipcub18WarpStoreAlgorithmE3EiEvPT3_S3_,@function
_Z17warp_store_kernelILj1024ELj4ELj64ELN6hipcub18WarpStoreAlgorithmE3EiEvPT3_S3_: ; @_Z17warp_store_kernelILj1024ELj4ELj64ELN6hipcub18WarpStoreAlgorithmE3EiEvPT3_S3_
; %bb.0:
	s_load_b128 s[0:3], s[0:1], 0x0
	v_mbcnt_lo_u32_b32 v1, -1, 0
	s_delay_alu instid0(VALU_DEP_1) | instskip(SKIP_4) | instid1(VALU_DEP_1)
	v_lshlrev_b32_e32 v6, 2, v1
	s_wait_kmcnt 0x0
	global_load_b128 v[2:5], v0, s[0:1] scale_offset
	s_wait_xcnt 0x0
	v_lshlrev_b32_e32 v0, 4, v0
	v_and_b32_e32 v0, 0x3c00, v0
	s_delay_alu instid0(VALU_DEP_1)
	v_lshl_or_b32 v1, v1, 4, v0
	v_or_b32_e32 v7, v0, v6
	s_wait_loadcnt 0x0
	ds_store_b128 v1, v[2:5]
	; wave barrier
	v_mov_b32_e32 v1, 0
	ds_load_2addr_stride64_b32 v[2:3], v7 offset1:1
	ds_load_2addr_stride64_b32 v[4:5], v7 offset0:2 offset1:3
	v_add_nc_u64_e32 v[8:9], s[2:3], v[0:1]
	v_mov_b32_e32 v7, v1
	s_delay_alu instid0(VALU_DEP_1)
	v_add_nc_u64_e32 v[0:1], v[8:9], v[6:7]
	s_wait_dscnt 0x1
	s_clause 0x1
	global_store_b32 v[0:1], v2, off
	global_store_b32 v[0:1], v3, off offset:256
	s_wait_dscnt 0x0
	s_clause 0x1
	global_store_b32 v[0:1], v4, off offset:512
	global_store_b32 v[0:1], v5, off offset:768
	s_endpgm
	.section	.rodata,"a",@progbits
	.p2align	6, 0x0
	.amdhsa_kernel _Z17warp_store_kernelILj1024ELj4ELj64ELN6hipcub18WarpStoreAlgorithmE3EiEvPT3_S3_
		.amdhsa_group_segment_fixed_size 16384
		.amdhsa_private_segment_fixed_size 0
		.amdhsa_kernarg_size 16
		.amdhsa_user_sgpr_count 2
		.amdhsa_user_sgpr_dispatch_ptr 0
		.amdhsa_user_sgpr_queue_ptr 0
		.amdhsa_user_sgpr_kernarg_segment_ptr 1
		.amdhsa_user_sgpr_dispatch_id 0
		.amdhsa_user_sgpr_kernarg_preload_length 0
		.amdhsa_user_sgpr_kernarg_preload_offset 0
		.amdhsa_user_sgpr_private_segment_size 0
		.amdhsa_wavefront_size32 1
		.amdhsa_uses_dynamic_stack 0
		.amdhsa_enable_private_segment 0
		.amdhsa_system_sgpr_workgroup_id_x 1
		.amdhsa_system_sgpr_workgroup_id_y 0
		.amdhsa_system_sgpr_workgroup_id_z 0
		.amdhsa_system_sgpr_workgroup_info 0
		.amdhsa_system_vgpr_workitem_id 0
		.amdhsa_next_free_vgpr 10
		.amdhsa_next_free_sgpr 4
		.amdhsa_named_barrier_count 0
		.amdhsa_reserve_vcc 0
		.amdhsa_float_round_mode_32 0
		.amdhsa_float_round_mode_16_64 0
		.amdhsa_float_denorm_mode_32 3
		.amdhsa_float_denorm_mode_16_64 3
		.amdhsa_fp16_overflow 0
		.amdhsa_memory_ordered 1
		.amdhsa_forward_progress 1
		.amdhsa_inst_pref_size 2
		.amdhsa_round_robin_scheduling 0
		.amdhsa_exception_fp_ieee_invalid_op 0
		.amdhsa_exception_fp_denorm_src 0
		.amdhsa_exception_fp_ieee_div_zero 0
		.amdhsa_exception_fp_ieee_overflow 0
		.amdhsa_exception_fp_ieee_underflow 0
		.amdhsa_exception_fp_ieee_inexact 0
		.amdhsa_exception_int_div_zero 0
	.end_amdhsa_kernel
	.section	.text._Z17warp_store_kernelILj1024ELj4ELj64ELN6hipcub18WarpStoreAlgorithmE3EiEvPT3_S3_,"axG",@progbits,_Z17warp_store_kernelILj1024ELj4ELj64ELN6hipcub18WarpStoreAlgorithmE3EiEvPT3_S3_,comdat
.Lfunc_end0:
	.size	_Z17warp_store_kernelILj1024ELj4ELj64ELN6hipcub18WarpStoreAlgorithmE3EiEvPT3_S3_, .Lfunc_end0-_Z17warp_store_kernelILj1024ELj4ELj64ELN6hipcub18WarpStoreAlgorithmE3EiEvPT3_S3_
                                        ; -- End function
	.set _Z17warp_store_kernelILj1024ELj4ELj64ELN6hipcub18WarpStoreAlgorithmE3EiEvPT3_S3_.num_vgpr, 10
	.set _Z17warp_store_kernelILj1024ELj4ELj64ELN6hipcub18WarpStoreAlgorithmE3EiEvPT3_S3_.num_agpr, 0
	.set _Z17warp_store_kernelILj1024ELj4ELj64ELN6hipcub18WarpStoreAlgorithmE3EiEvPT3_S3_.numbered_sgpr, 4
	.set _Z17warp_store_kernelILj1024ELj4ELj64ELN6hipcub18WarpStoreAlgorithmE3EiEvPT3_S3_.num_named_barrier, 0
	.set _Z17warp_store_kernelILj1024ELj4ELj64ELN6hipcub18WarpStoreAlgorithmE3EiEvPT3_S3_.private_seg_size, 0
	.set _Z17warp_store_kernelILj1024ELj4ELj64ELN6hipcub18WarpStoreAlgorithmE3EiEvPT3_S3_.uses_vcc, 0
	.set _Z17warp_store_kernelILj1024ELj4ELj64ELN6hipcub18WarpStoreAlgorithmE3EiEvPT3_S3_.uses_flat_scratch, 0
	.set _Z17warp_store_kernelILj1024ELj4ELj64ELN6hipcub18WarpStoreAlgorithmE3EiEvPT3_S3_.has_dyn_sized_stack, 0
	.set _Z17warp_store_kernelILj1024ELj4ELj64ELN6hipcub18WarpStoreAlgorithmE3EiEvPT3_S3_.has_recursion, 0
	.set _Z17warp_store_kernelILj1024ELj4ELj64ELN6hipcub18WarpStoreAlgorithmE3EiEvPT3_S3_.has_indirect_call, 0
	.section	.AMDGPU.csdata,"",@progbits
; Kernel info:
; codeLenInByte = 188
; TotalNumSgprs: 4
; NumVgprs: 10
; ScratchSize: 0
; MemoryBound: 0
; FloatMode: 240
; IeeeMode: 1
; LDSByteSize: 16384 bytes/workgroup (compile time only)
; SGPRBlocks: 0
; VGPRBlocks: 0
; NumSGPRsForWavesPerEU: 4
; NumVGPRsForWavesPerEU: 10
; NamedBarCnt: 0
; Occupancy: 16
; WaveLimiterHint : 1
; COMPUTE_PGM_RSRC2:SCRATCH_EN: 0
; COMPUTE_PGM_RSRC2:USER_SGPR: 2
; COMPUTE_PGM_RSRC2:TRAP_HANDLER: 0
; COMPUTE_PGM_RSRC2:TGID_X_EN: 1
; COMPUTE_PGM_RSRC2:TGID_Y_EN: 0
; COMPUTE_PGM_RSRC2:TGID_Z_EN: 0
; COMPUTE_PGM_RSRC2:TIDIG_COMP_CNT: 0
	.section	.text._Z17warp_store_kernelILj1024ELj4ELj64ELN6hipcub18WarpStoreAlgorithmE2EiEvPT3_S3_,"axG",@progbits,_Z17warp_store_kernelILj1024ELj4ELj64ELN6hipcub18WarpStoreAlgorithmE2EiEvPT3_S3_,comdat
	.protected	_Z17warp_store_kernelILj1024ELj4ELj64ELN6hipcub18WarpStoreAlgorithmE2EiEvPT3_S3_ ; -- Begin function _Z17warp_store_kernelILj1024ELj4ELj64ELN6hipcub18WarpStoreAlgorithmE2EiEvPT3_S3_
	.globl	_Z17warp_store_kernelILj1024ELj4ELj64ELN6hipcub18WarpStoreAlgorithmE2EiEvPT3_S3_
	.p2align	8
	.type	_Z17warp_store_kernelILj1024ELj4ELj64ELN6hipcub18WarpStoreAlgorithmE2EiEvPT3_S3_,@function
_Z17warp_store_kernelILj1024ELj4ELj64ELN6hipcub18WarpStoreAlgorithmE2EiEvPT3_S3_: ; @_Z17warp_store_kernelILj1024ELj4ELj64ELN6hipcub18WarpStoreAlgorithmE2EiEvPT3_S3_
; %bb.0:
	s_load_b128 s[0:3], s[0:1], 0x0
	v_mbcnt_lo_u32_b32 v8, -1, 0
	v_mov_b32_e32 v1, 0
	s_wait_kmcnt 0x0
	global_load_b128 v[2:5], v0, s[0:1] scale_offset
	s_wait_xcnt 0x0
	v_lshlrev_b32_e32 v0, 4, v0
	s_delay_alu instid0(VALU_DEP_1) | instskip(NEXT) | instid1(VALU_DEP_1)
	v_and_b32_e32 v0, 0x3c00, v0
	v_add_nc_u64_e32 v[6:7], s[2:3], v[0:1]
	v_lshlrev_b32_e32 v0, 4, v8
	s_delay_alu instid0(VALU_DEP_1)
	v_add_nc_u64_e32 v[0:1], v[6:7], v[0:1]
	s_wait_loadcnt 0x0
	global_store_b128 v[0:1], v[2:5], off
	s_endpgm
	.section	.rodata,"a",@progbits
	.p2align	6, 0x0
	.amdhsa_kernel _Z17warp_store_kernelILj1024ELj4ELj64ELN6hipcub18WarpStoreAlgorithmE2EiEvPT3_S3_
		.amdhsa_group_segment_fixed_size 0
		.amdhsa_private_segment_fixed_size 0
		.amdhsa_kernarg_size 16
		.amdhsa_user_sgpr_count 2
		.amdhsa_user_sgpr_dispatch_ptr 0
		.amdhsa_user_sgpr_queue_ptr 0
		.amdhsa_user_sgpr_kernarg_segment_ptr 1
		.amdhsa_user_sgpr_dispatch_id 0
		.amdhsa_user_sgpr_kernarg_preload_length 0
		.amdhsa_user_sgpr_kernarg_preload_offset 0
		.amdhsa_user_sgpr_private_segment_size 0
		.amdhsa_wavefront_size32 1
		.amdhsa_uses_dynamic_stack 0
		.amdhsa_enable_private_segment 0
		.amdhsa_system_sgpr_workgroup_id_x 1
		.amdhsa_system_sgpr_workgroup_id_y 0
		.amdhsa_system_sgpr_workgroup_id_z 0
		.amdhsa_system_sgpr_workgroup_info 0
		.amdhsa_system_vgpr_workitem_id 0
		.amdhsa_next_free_vgpr 9
		.amdhsa_next_free_sgpr 4
		.amdhsa_named_barrier_count 0
		.amdhsa_reserve_vcc 0
		.amdhsa_float_round_mode_32 0
		.amdhsa_float_round_mode_16_64 0
		.amdhsa_float_denorm_mode_32 3
		.amdhsa_float_denorm_mode_16_64 3
		.amdhsa_fp16_overflow 0
		.amdhsa_memory_ordered 1
		.amdhsa_forward_progress 1
		.amdhsa_inst_pref_size 1
		.amdhsa_round_robin_scheduling 0
		.amdhsa_exception_fp_ieee_invalid_op 0
		.amdhsa_exception_fp_denorm_src 0
		.amdhsa_exception_fp_ieee_div_zero 0
		.amdhsa_exception_fp_ieee_overflow 0
		.amdhsa_exception_fp_ieee_underflow 0
		.amdhsa_exception_fp_ieee_inexact 0
		.amdhsa_exception_int_div_zero 0
	.end_amdhsa_kernel
	.section	.text._Z17warp_store_kernelILj1024ELj4ELj64ELN6hipcub18WarpStoreAlgorithmE2EiEvPT3_S3_,"axG",@progbits,_Z17warp_store_kernelILj1024ELj4ELj64ELN6hipcub18WarpStoreAlgorithmE2EiEvPT3_S3_,comdat
.Lfunc_end1:
	.size	_Z17warp_store_kernelILj1024ELj4ELj64ELN6hipcub18WarpStoreAlgorithmE2EiEvPT3_S3_, .Lfunc_end1-_Z17warp_store_kernelILj1024ELj4ELj64ELN6hipcub18WarpStoreAlgorithmE2EiEvPT3_S3_
                                        ; -- End function
	.set _Z17warp_store_kernelILj1024ELj4ELj64ELN6hipcub18WarpStoreAlgorithmE2EiEvPT3_S3_.num_vgpr, 9
	.set _Z17warp_store_kernelILj1024ELj4ELj64ELN6hipcub18WarpStoreAlgorithmE2EiEvPT3_S3_.num_agpr, 0
	.set _Z17warp_store_kernelILj1024ELj4ELj64ELN6hipcub18WarpStoreAlgorithmE2EiEvPT3_S3_.numbered_sgpr, 4
	.set _Z17warp_store_kernelILj1024ELj4ELj64ELN6hipcub18WarpStoreAlgorithmE2EiEvPT3_S3_.num_named_barrier, 0
	.set _Z17warp_store_kernelILj1024ELj4ELj64ELN6hipcub18WarpStoreAlgorithmE2EiEvPT3_S3_.private_seg_size, 0
	.set _Z17warp_store_kernelILj1024ELj4ELj64ELN6hipcub18WarpStoreAlgorithmE2EiEvPT3_S3_.uses_vcc, 0
	.set _Z17warp_store_kernelILj1024ELj4ELj64ELN6hipcub18WarpStoreAlgorithmE2EiEvPT3_S3_.uses_flat_scratch, 0
	.set _Z17warp_store_kernelILj1024ELj4ELj64ELN6hipcub18WarpStoreAlgorithmE2EiEvPT3_S3_.has_dyn_sized_stack, 0
	.set _Z17warp_store_kernelILj1024ELj4ELj64ELN6hipcub18WarpStoreAlgorithmE2EiEvPT3_S3_.has_recursion, 0
	.set _Z17warp_store_kernelILj1024ELj4ELj64ELN6hipcub18WarpStoreAlgorithmE2EiEvPT3_S3_.has_indirect_call, 0
	.section	.AMDGPU.csdata,"",@progbits
; Kernel info:
; codeLenInByte = 92
; TotalNumSgprs: 4
; NumVgprs: 9
; ScratchSize: 0
; MemoryBound: 0
; FloatMode: 240
; IeeeMode: 1
; LDSByteSize: 0 bytes/workgroup (compile time only)
; SGPRBlocks: 0
; VGPRBlocks: 0
; NumSGPRsForWavesPerEU: 4
; NumVGPRsForWavesPerEU: 9
; NamedBarCnt: 0
; Occupancy: 16
; WaveLimiterHint : 0
; COMPUTE_PGM_RSRC2:SCRATCH_EN: 0
; COMPUTE_PGM_RSRC2:USER_SGPR: 2
; COMPUTE_PGM_RSRC2:TRAP_HANDLER: 0
; COMPUTE_PGM_RSRC2:TGID_X_EN: 1
; COMPUTE_PGM_RSRC2:TGID_Y_EN: 0
; COMPUTE_PGM_RSRC2:TGID_Z_EN: 0
; COMPUTE_PGM_RSRC2:TIDIG_COMP_CNT: 0
	.section	.text._Z17warp_store_kernelILj1024ELj4ELj64ELN6hipcub18WarpStoreAlgorithmE1EiEvPT3_S3_,"axG",@progbits,_Z17warp_store_kernelILj1024ELj4ELj64ELN6hipcub18WarpStoreAlgorithmE1EiEvPT3_S3_,comdat
	.protected	_Z17warp_store_kernelILj1024ELj4ELj64ELN6hipcub18WarpStoreAlgorithmE1EiEvPT3_S3_ ; -- Begin function _Z17warp_store_kernelILj1024ELj4ELj64ELN6hipcub18WarpStoreAlgorithmE1EiEvPT3_S3_
	.globl	_Z17warp_store_kernelILj1024ELj4ELj64ELN6hipcub18WarpStoreAlgorithmE1EiEvPT3_S3_
	.p2align	8
	.type	_Z17warp_store_kernelILj1024ELj4ELj64ELN6hipcub18WarpStoreAlgorithmE1EiEvPT3_S3_,@function
_Z17warp_store_kernelILj1024ELj4ELj64ELN6hipcub18WarpStoreAlgorithmE1EiEvPT3_S3_: ; @_Z17warp_store_kernelILj1024ELj4ELj64ELN6hipcub18WarpStoreAlgorithmE1EiEvPT3_S3_
; %bb.0:
	s_load_b128 s[0:3], s[0:1], 0x0
	v_mbcnt_lo_u32_b32 v8, -1, 0
	v_mov_b32_e32 v1, 0
	s_wait_kmcnt 0x0
	global_load_b128 v[2:5], v0, s[0:1] scale_offset
	s_wait_xcnt 0x0
	v_lshlrev_b32_e32 v0, 4, v0
	s_delay_alu instid0(VALU_DEP_1) | instskip(NEXT) | instid1(VALU_DEP_1)
	v_and_b32_e32 v0, 0x3c00, v0
	v_add_nc_u64_e32 v[6:7], s[2:3], v[0:1]
	v_lshlrev_b32_e32 v0, 2, v8
	s_delay_alu instid0(VALU_DEP_1)
	v_add_nc_u64_e32 v[0:1], v[6:7], v[0:1]
	s_wait_loadcnt 0x0
	s_clause 0x3
	global_store_b32 v[0:1], v2, off
	global_store_b32 v[0:1], v3, off offset:256
	global_store_b32 v[0:1], v4, off offset:512
	;; [unrolled: 1-line block ×3, first 2 shown]
	s_endpgm
	.section	.rodata,"a",@progbits
	.p2align	6, 0x0
	.amdhsa_kernel _Z17warp_store_kernelILj1024ELj4ELj64ELN6hipcub18WarpStoreAlgorithmE1EiEvPT3_S3_
		.amdhsa_group_segment_fixed_size 0
		.amdhsa_private_segment_fixed_size 0
		.amdhsa_kernarg_size 16
		.amdhsa_user_sgpr_count 2
		.amdhsa_user_sgpr_dispatch_ptr 0
		.amdhsa_user_sgpr_queue_ptr 0
		.amdhsa_user_sgpr_kernarg_segment_ptr 1
		.amdhsa_user_sgpr_dispatch_id 0
		.amdhsa_user_sgpr_kernarg_preload_length 0
		.amdhsa_user_sgpr_kernarg_preload_offset 0
		.amdhsa_user_sgpr_private_segment_size 0
		.amdhsa_wavefront_size32 1
		.amdhsa_uses_dynamic_stack 0
		.amdhsa_enable_private_segment 0
		.amdhsa_system_sgpr_workgroup_id_x 1
		.amdhsa_system_sgpr_workgroup_id_y 0
		.amdhsa_system_sgpr_workgroup_id_z 0
		.amdhsa_system_sgpr_workgroup_info 0
		.amdhsa_system_vgpr_workitem_id 0
		.amdhsa_next_free_vgpr 9
		.amdhsa_next_free_sgpr 4
		.amdhsa_named_barrier_count 0
		.amdhsa_reserve_vcc 0
		.amdhsa_float_round_mode_32 0
		.amdhsa_float_round_mode_16_64 0
		.amdhsa_float_denorm_mode_32 3
		.amdhsa_float_denorm_mode_16_64 3
		.amdhsa_fp16_overflow 0
		.amdhsa_memory_ordered 1
		.amdhsa_forward_progress 1
		.amdhsa_inst_pref_size 2
		.amdhsa_round_robin_scheduling 0
		.amdhsa_exception_fp_ieee_invalid_op 0
		.amdhsa_exception_fp_denorm_src 0
		.amdhsa_exception_fp_ieee_div_zero 0
		.amdhsa_exception_fp_ieee_overflow 0
		.amdhsa_exception_fp_ieee_underflow 0
		.amdhsa_exception_fp_ieee_inexact 0
		.amdhsa_exception_int_div_zero 0
	.end_amdhsa_kernel
	.section	.text._Z17warp_store_kernelILj1024ELj4ELj64ELN6hipcub18WarpStoreAlgorithmE1EiEvPT3_S3_,"axG",@progbits,_Z17warp_store_kernelILj1024ELj4ELj64ELN6hipcub18WarpStoreAlgorithmE1EiEvPT3_S3_,comdat
.Lfunc_end2:
	.size	_Z17warp_store_kernelILj1024ELj4ELj64ELN6hipcub18WarpStoreAlgorithmE1EiEvPT3_S3_, .Lfunc_end2-_Z17warp_store_kernelILj1024ELj4ELj64ELN6hipcub18WarpStoreAlgorithmE1EiEvPT3_S3_
                                        ; -- End function
	.set _Z17warp_store_kernelILj1024ELj4ELj64ELN6hipcub18WarpStoreAlgorithmE1EiEvPT3_S3_.num_vgpr, 9
	.set _Z17warp_store_kernelILj1024ELj4ELj64ELN6hipcub18WarpStoreAlgorithmE1EiEvPT3_S3_.num_agpr, 0
	.set _Z17warp_store_kernelILj1024ELj4ELj64ELN6hipcub18WarpStoreAlgorithmE1EiEvPT3_S3_.numbered_sgpr, 4
	.set _Z17warp_store_kernelILj1024ELj4ELj64ELN6hipcub18WarpStoreAlgorithmE1EiEvPT3_S3_.num_named_barrier, 0
	.set _Z17warp_store_kernelILj1024ELj4ELj64ELN6hipcub18WarpStoreAlgorithmE1EiEvPT3_S3_.private_seg_size, 0
	.set _Z17warp_store_kernelILj1024ELj4ELj64ELN6hipcub18WarpStoreAlgorithmE1EiEvPT3_S3_.uses_vcc, 0
	.set _Z17warp_store_kernelILj1024ELj4ELj64ELN6hipcub18WarpStoreAlgorithmE1EiEvPT3_S3_.uses_flat_scratch, 0
	.set _Z17warp_store_kernelILj1024ELj4ELj64ELN6hipcub18WarpStoreAlgorithmE1EiEvPT3_S3_.has_dyn_sized_stack, 0
	.set _Z17warp_store_kernelILj1024ELj4ELj64ELN6hipcub18WarpStoreAlgorithmE1EiEvPT3_S3_.has_recursion, 0
	.set _Z17warp_store_kernelILj1024ELj4ELj64ELN6hipcub18WarpStoreAlgorithmE1EiEvPT3_S3_.has_indirect_call, 0
	.section	.AMDGPU.csdata,"",@progbits
; Kernel info:
; codeLenInByte = 132
; TotalNumSgprs: 4
; NumVgprs: 9
; ScratchSize: 0
; MemoryBound: 0
; FloatMode: 240
; IeeeMode: 1
; LDSByteSize: 0 bytes/workgroup (compile time only)
; SGPRBlocks: 0
; VGPRBlocks: 0
; NumSGPRsForWavesPerEU: 4
; NumVGPRsForWavesPerEU: 9
; NamedBarCnt: 0
; Occupancy: 16
; WaveLimiterHint : 1
; COMPUTE_PGM_RSRC2:SCRATCH_EN: 0
; COMPUTE_PGM_RSRC2:USER_SGPR: 2
; COMPUTE_PGM_RSRC2:TRAP_HANDLER: 0
; COMPUTE_PGM_RSRC2:TGID_X_EN: 1
; COMPUTE_PGM_RSRC2:TGID_Y_EN: 0
; COMPUTE_PGM_RSRC2:TGID_Z_EN: 0
; COMPUTE_PGM_RSRC2:TIDIG_COMP_CNT: 0
	.section	.text._Z17warp_store_kernelILj1024ELj4ELj64ELN6hipcub18WarpStoreAlgorithmE0EiEvPT3_S3_,"axG",@progbits,_Z17warp_store_kernelILj1024ELj4ELj64ELN6hipcub18WarpStoreAlgorithmE0EiEvPT3_S3_,comdat
	.protected	_Z17warp_store_kernelILj1024ELj4ELj64ELN6hipcub18WarpStoreAlgorithmE0EiEvPT3_S3_ ; -- Begin function _Z17warp_store_kernelILj1024ELj4ELj64ELN6hipcub18WarpStoreAlgorithmE0EiEvPT3_S3_
	.globl	_Z17warp_store_kernelILj1024ELj4ELj64ELN6hipcub18WarpStoreAlgorithmE0EiEvPT3_S3_
	.p2align	8
	.type	_Z17warp_store_kernelILj1024ELj4ELj64ELN6hipcub18WarpStoreAlgorithmE0EiEvPT3_S3_,@function
_Z17warp_store_kernelILj1024ELj4ELj64ELN6hipcub18WarpStoreAlgorithmE0EiEvPT3_S3_: ; @_Z17warp_store_kernelILj1024ELj4ELj64ELN6hipcub18WarpStoreAlgorithmE0EiEvPT3_S3_
; %bb.0:
	s_load_b128 s[0:3], s[0:1], 0x0
	v_mbcnt_lo_u32_b32 v8, -1, 0
	v_mov_b32_e32 v1, 0
	s_wait_kmcnt 0x0
	global_load_b128 v[2:5], v0, s[0:1] scale_offset
	s_wait_xcnt 0x0
	v_lshlrev_b32_e32 v0, 4, v0
	s_delay_alu instid0(VALU_DEP_1) | instskip(NEXT) | instid1(VALU_DEP_1)
	v_and_b32_e32 v0, 0x3c00, v0
	v_add_nc_u64_e32 v[6:7], s[2:3], v[0:1]
	v_lshlrev_b32_e32 v0, 4, v8
	s_delay_alu instid0(VALU_DEP_1)
	v_add_nc_u64_e32 v[0:1], v[6:7], v[0:1]
	s_wait_loadcnt 0x0
	global_store_b128 v[0:1], v[2:5], off
	s_endpgm
	.section	.rodata,"a",@progbits
	.p2align	6, 0x0
	.amdhsa_kernel _Z17warp_store_kernelILj1024ELj4ELj64ELN6hipcub18WarpStoreAlgorithmE0EiEvPT3_S3_
		.amdhsa_group_segment_fixed_size 0
		.amdhsa_private_segment_fixed_size 0
		.amdhsa_kernarg_size 16
		.amdhsa_user_sgpr_count 2
		.amdhsa_user_sgpr_dispatch_ptr 0
		.amdhsa_user_sgpr_queue_ptr 0
		.amdhsa_user_sgpr_kernarg_segment_ptr 1
		.amdhsa_user_sgpr_dispatch_id 0
		.amdhsa_user_sgpr_kernarg_preload_length 0
		.amdhsa_user_sgpr_kernarg_preload_offset 0
		.amdhsa_user_sgpr_private_segment_size 0
		.amdhsa_wavefront_size32 1
		.amdhsa_uses_dynamic_stack 0
		.amdhsa_enable_private_segment 0
		.amdhsa_system_sgpr_workgroup_id_x 1
		.amdhsa_system_sgpr_workgroup_id_y 0
		.amdhsa_system_sgpr_workgroup_id_z 0
		.amdhsa_system_sgpr_workgroup_info 0
		.amdhsa_system_vgpr_workitem_id 0
		.amdhsa_next_free_vgpr 9
		.amdhsa_next_free_sgpr 4
		.amdhsa_named_barrier_count 0
		.amdhsa_reserve_vcc 0
		.amdhsa_float_round_mode_32 0
		.amdhsa_float_round_mode_16_64 0
		.amdhsa_float_denorm_mode_32 3
		.amdhsa_float_denorm_mode_16_64 3
		.amdhsa_fp16_overflow 0
		.amdhsa_memory_ordered 1
		.amdhsa_forward_progress 1
		.amdhsa_inst_pref_size 1
		.amdhsa_round_robin_scheduling 0
		.amdhsa_exception_fp_ieee_invalid_op 0
		.amdhsa_exception_fp_denorm_src 0
		.amdhsa_exception_fp_ieee_div_zero 0
		.amdhsa_exception_fp_ieee_overflow 0
		.amdhsa_exception_fp_ieee_underflow 0
		.amdhsa_exception_fp_ieee_inexact 0
		.amdhsa_exception_int_div_zero 0
	.end_amdhsa_kernel
	.section	.text._Z17warp_store_kernelILj1024ELj4ELj64ELN6hipcub18WarpStoreAlgorithmE0EiEvPT3_S3_,"axG",@progbits,_Z17warp_store_kernelILj1024ELj4ELj64ELN6hipcub18WarpStoreAlgorithmE0EiEvPT3_S3_,comdat
.Lfunc_end3:
	.size	_Z17warp_store_kernelILj1024ELj4ELj64ELN6hipcub18WarpStoreAlgorithmE0EiEvPT3_S3_, .Lfunc_end3-_Z17warp_store_kernelILj1024ELj4ELj64ELN6hipcub18WarpStoreAlgorithmE0EiEvPT3_S3_
                                        ; -- End function
	.set _Z17warp_store_kernelILj1024ELj4ELj64ELN6hipcub18WarpStoreAlgorithmE0EiEvPT3_S3_.num_vgpr, 9
	.set _Z17warp_store_kernelILj1024ELj4ELj64ELN6hipcub18WarpStoreAlgorithmE0EiEvPT3_S3_.num_agpr, 0
	.set _Z17warp_store_kernelILj1024ELj4ELj64ELN6hipcub18WarpStoreAlgorithmE0EiEvPT3_S3_.numbered_sgpr, 4
	.set _Z17warp_store_kernelILj1024ELj4ELj64ELN6hipcub18WarpStoreAlgorithmE0EiEvPT3_S3_.num_named_barrier, 0
	.set _Z17warp_store_kernelILj1024ELj4ELj64ELN6hipcub18WarpStoreAlgorithmE0EiEvPT3_S3_.private_seg_size, 0
	.set _Z17warp_store_kernelILj1024ELj4ELj64ELN6hipcub18WarpStoreAlgorithmE0EiEvPT3_S3_.uses_vcc, 0
	.set _Z17warp_store_kernelILj1024ELj4ELj64ELN6hipcub18WarpStoreAlgorithmE0EiEvPT3_S3_.uses_flat_scratch, 0
	.set _Z17warp_store_kernelILj1024ELj4ELj64ELN6hipcub18WarpStoreAlgorithmE0EiEvPT3_S3_.has_dyn_sized_stack, 0
	.set _Z17warp_store_kernelILj1024ELj4ELj64ELN6hipcub18WarpStoreAlgorithmE0EiEvPT3_S3_.has_recursion, 0
	.set _Z17warp_store_kernelILj1024ELj4ELj64ELN6hipcub18WarpStoreAlgorithmE0EiEvPT3_S3_.has_indirect_call, 0
	.section	.AMDGPU.csdata,"",@progbits
; Kernel info:
; codeLenInByte = 92
; TotalNumSgprs: 4
; NumVgprs: 9
; ScratchSize: 0
; MemoryBound: 0
; FloatMode: 240
; IeeeMode: 1
; LDSByteSize: 0 bytes/workgroup (compile time only)
; SGPRBlocks: 0
; VGPRBlocks: 0
; NumSGPRsForWavesPerEU: 4
; NumVGPRsForWavesPerEU: 9
; NamedBarCnt: 0
; Occupancy: 16
; WaveLimiterHint : 0
; COMPUTE_PGM_RSRC2:SCRATCH_EN: 0
; COMPUTE_PGM_RSRC2:USER_SGPR: 2
; COMPUTE_PGM_RSRC2:TRAP_HANDLER: 0
; COMPUTE_PGM_RSRC2:TGID_X_EN: 1
; COMPUTE_PGM_RSRC2:TGID_Y_EN: 0
; COMPUTE_PGM_RSRC2:TGID_Z_EN: 0
; COMPUTE_PGM_RSRC2:TIDIG_COMP_CNT: 0
	.section	.text._Z17warp_store_kernelILj1024ELj4ELj32ELN6hipcub18WarpStoreAlgorithmE3EiEvPT3_S3_,"axG",@progbits,_Z17warp_store_kernelILj1024ELj4ELj32ELN6hipcub18WarpStoreAlgorithmE3EiEvPT3_S3_,comdat
	.protected	_Z17warp_store_kernelILj1024ELj4ELj32ELN6hipcub18WarpStoreAlgorithmE3EiEvPT3_S3_ ; -- Begin function _Z17warp_store_kernelILj1024ELj4ELj32ELN6hipcub18WarpStoreAlgorithmE3EiEvPT3_S3_
	.globl	_Z17warp_store_kernelILj1024ELj4ELj32ELN6hipcub18WarpStoreAlgorithmE3EiEvPT3_S3_
	.p2align	8
	.type	_Z17warp_store_kernelILj1024ELj4ELj32ELN6hipcub18WarpStoreAlgorithmE3EiEvPT3_S3_,@function
_Z17warp_store_kernelILj1024ELj4ELj32ELN6hipcub18WarpStoreAlgorithmE3EiEvPT3_S3_: ; @_Z17warp_store_kernelILj1024ELj4ELj32ELN6hipcub18WarpStoreAlgorithmE3EiEvPT3_S3_
; %bb.0:
	s_load_b128 s[0:3], s[0:1], 0x0
	v_mbcnt_lo_u32_b32 v8, -1, 0
	s_wait_kmcnt 0x0
	global_load_b128 v[2:5], v0, s[0:1] scale_offset
	s_wait_xcnt 0x0
	v_lshlrev_b32_e32 v0, 4, v0
	s_delay_alu instid0(VALU_DEP_1) | instskip(NEXT) | instid1(VALU_DEP_1)
	v_and_b32_e32 v0, 0x3e00, v0
	v_lshl_or_b32 v1, v8, 4, v0
	s_delay_alu instid0(VALU_DEP_1)
	v_mad_i32_i24 v6, v8, -12, v1
	s_wait_loadcnt 0x0
	ds_store_b128 v1, v[2:5]
	; wave barrier
	ds_load_2addr_b32 v[2:3], v6 offset1:32
	v_mov_b32_e32 v1, 0
	ds_load_2addr_b32 v[4:5], v6 offset0:64 offset1:96
	v_add_nc_u64_e32 v[6:7], s[2:3], v[0:1]
	v_lshlrev_b32_e32 v0, 2, v8
	s_delay_alu instid0(VALU_DEP_1)
	v_add_nc_u64_e32 v[0:1], v[6:7], v[0:1]
	s_wait_dscnt 0x1
	s_clause 0x1
	global_store_b32 v[0:1], v2, off
	global_store_b32 v[0:1], v3, off offset:128
	s_wait_dscnt 0x0
	s_clause 0x1
	global_store_b32 v[0:1], v4, off offset:256
	global_store_b32 v[0:1], v5, off offset:384
	s_endpgm
	.section	.rodata,"a",@progbits
	.p2align	6, 0x0
	.amdhsa_kernel _Z17warp_store_kernelILj1024ELj4ELj32ELN6hipcub18WarpStoreAlgorithmE3EiEvPT3_S3_
		.amdhsa_group_segment_fixed_size 16384
		.amdhsa_private_segment_fixed_size 0
		.amdhsa_kernarg_size 16
		.amdhsa_user_sgpr_count 2
		.amdhsa_user_sgpr_dispatch_ptr 0
		.amdhsa_user_sgpr_queue_ptr 0
		.amdhsa_user_sgpr_kernarg_segment_ptr 1
		.amdhsa_user_sgpr_dispatch_id 0
		.amdhsa_user_sgpr_kernarg_preload_length 0
		.amdhsa_user_sgpr_kernarg_preload_offset 0
		.amdhsa_user_sgpr_private_segment_size 0
		.amdhsa_wavefront_size32 1
		.amdhsa_uses_dynamic_stack 0
		.amdhsa_enable_private_segment 0
		.amdhsa_system_sgpr_workgroup_id_x 1
		.amdhsa_system_sgpr_workgroup_id_y 0
		.amdhsa_system_sgpr_workgroup_id_z 0
		.amdhsa_system_sgpr_workgroup_info 0
		.amdhsa_system_vgpr_workitem_id 0
		.amdhsa_next_free_vgpr 9
		.amdhsa_next_free_sgpr 4
		.amdhsa_named_barrier_count 0
		.amdhsa_reserve_vcc 0
		.amdhsa_float_round_mode_32 0
		.amdhsa_float_round_mode_16_64 0
		.amdhsa_float_denorm_mode_32 3
		.amdhsa_float_denorm_mode_16_64 3
		.amdhsa_fp16_overflow 0
		.amdhsa_memory_ordered 1
		.amdhsa_forward_progress 1
		.amdhsa_inst_pref_size 2
		.amdhsa_round_robin_scheduling 0
		.amdhsa_exception_fp_ieee_invalid_op 0
		.amdhsa_exception_fp_denorm_src 0
		.amdhsa_exception_fp_ieee_div_zero 0
		.amdhsa_exception_fp_ieee_overflow 0
		.amdhsa_exception_fp_ieee_underflow 0
		.amdhsa_exception_fp_ieee_inexact 0
		.amdhsa_exception_int_div_zero 0
	.end_amdhsa_kernel
	.section	.text._Z17warp_store_kernelILj1024ELj4ELj32ELN6hipcub18WarpStoreAlgorithmE3EiEvPT3_S3_,"axG",@progbits,_Z17warp_store_kernelILj1024ELj4ELj32ELN6hipcub18WarpStoreAlgorithmE3EiEvPT3_S3_,comdat
.Lfunc_end4:
	.size	_Z17warp_store_kernelILj1024ELj4ELj32ELN6hipcub18WarpStoreAlgorithmE3EiEvPT3_S3_, .Lfunc_end4-_Z17warp_store_kernelILj1024ELj4ELj32ELN6hipcub18WarpStoreAlgorithmE3EiEvPT3_S3_
                                        ; -- End function
	.set _Z17warp_store_kernelILj1024ELj4ELj32ELN6hipcub18WarpStoreAlgorithmE3EiEvPT3_S3_.num_vgpr, 9
	.set _Z17warp_store_kernelILj1024ELj4ELj32ELN6hipcub18WarpStoreAlgorithmE3EiEvPT3_S3_.num_agpr, 0
	.set _Z17warp_store_kernelILj1024ELj4ELj32ELN6hipcub18WarpStoreAlgorithmE3EiEvPT3_S3_.numbered_sgpr, 4
	.set _Z17warp_store_kernelILj1024ELj4ELj32ELN6hipcub18WarpStoreAlgorithmE3EiEvPT3_S3_.num_named_barrier, 0
	.set _Z17warp_store_kernelILj1024ELj4ELj32ELN6hipcub18WarpStoreAlgorithmE3EiEvPT3_S3_.private_seg_size, 0
	.set _Z17warp_store_kernelILj1024ELj4ELj32ELN6hipcub18WarpStoreAlgorithmE3EiEvPT3_S3_.uses_vcc, 0
	.set _Z17warp_store_kernelILj1024ELj4ELj32ELN6hipcub18WarpStoreAlgorithmE3EiEvPT3_S3_.uses_flat_scratch, 0
	.set _Z17warp_store_kernelILj1024ELj4ELj32ELN6hipcub18WarpStoreAlgorithmE3EiEvPT3_S3_.has_dyn_sized_stack, 0
	.set _Z17warp_store_kernelILj1024ELj4ELj32ELN6hipcub18WarpStoreAlgorithmE3EiEvPT3_S3_.has_recursion, 0
	.set _Z17warp_store_kernelILj1024ELj4ELj32ELN6hipcub18WarpStoreAlgorithmE3EiEvPT3_S3_.has_indirect_call, 0
	.section	.AMDGPU.csdata,"",@progbits
; Kernel info:
; codeLenInByte = 188
; TotalNumSgprs: 4
; NumVgprs: 9
; ScratchSize: 0
; MemoryBound: 0
; FloatMode: 240
; IeeeMode: 1
; LDSByteSize: 16384 bytes/workgroup (compile time only)
; SGPRBlocks: 0
; VGPRBlocks: 0
; NumSGPRsForWavesPerEU: 4
; NumVGPRsForWavesPerEU: 9
; NamedBarCnt: 0
; Occupancy: 16
; WaveLimiterHint : 1
; COMPUTE_PGM_RSRC2:SCRATCH_EN: 0
; COMPUTE_PGM_RSRC2:USER_SGPR: 2
; COMPUTE_PGM_RSRC2:TRAP_HANDLER: 0
; COMPUTE_PGM_RSRC2:TGID_X_EN: 1
; COMPUTE_PGM_RSRC2:TGID_Y_EN: 0
; COMPUTE_PGM_RSRC2:TGID_Z_EN: 0
; COMPUTE_PGM_RSRC2:TIDIG_COMP_CNT: 0
	.section	.text._Z17warp_store_kernelILj1024ELj4ELj32ELN6hipcub18WarpStoreAlgorithmE2EiEvPT3_S3_,"axG",@progbits,_Z17warp_store_kernelILj1024ELj4ELj32ELN6hipcub18WarpStoreAlgorithmE2EiEvPT3_S3_,comdat
	.protected	_Z17warp_store_kernelILj1024ELj4ELj32ELN6hipcub18WarpStoreAlgorithmE2EiEvPT3_S3_ ; -- Begin function _Z17warp_store_kernelILj1024ELj4ELj32ELN6hipcub18WarpStoreAlgorithmE2EiEvPT3_S3_
	.globl	_Z17warp_store_kernelILj1024ELj4ELj32ELN6hipcub18WarpStoreAlgorithmE2EiEvPT3_S3_
	.p2align	8
	.type	_Z17warp_store_kernelILj1024ELj4ELj32ELN6hipcub18WarpStoreAlgorithmE2EiEvPT3_S3_,@function
_Z17warp_store_kernelILj1024ELj4ELj32ELN6hipcub18WarpStoreAlgorithmE2EiEvPT3_S3_: ; @_Z17warp_store_kernelILj1024ELj4ELj32ELN6hipcub18WarpStoreAlgorithmE2EiEvPT3_S3_
; %bb.0:
	s_load_b128 s[0:3], s[0:1], 0x0
	v_mbcnt_lo_u32_b32 v8, -1, 0
	v_mov_b32_e32 v1, 0
	s_wait_kmcnt 0x0
	global_load_b128 v[2:5], v0, s[0:1] scale_offset
	s_wait_xcnt 0x0
	v_lshlrev_b32_e32 v0, 4, v0
	s_delay_alu instid0(VALU_DEP_1) | instskip(NEXT) | instid1(VALU_DEP_1)
	v_and_b32_e32 v0, 0x3e00, v0
	v_add_nc_u64_e32 v[6:7], s[2:3], v[0:1]
	v_lshlrev_b32_e32 v0, 4, v8
	s_delay_alu instid0(VALU_DEP_1)
	v_add_nc_u64_e32 v[0:1], v[6:7], v[0:1]
	s_wait_loadcnt 0x0
	global_store_b128 v[0:1], v[2:5], off
	s_endpgm
	.section	.rodata,"a",@progbits
	.p2align	6, 0x0
	.amdhsa_kernel _Z17warp_store_kernelILj1024ELj4ELj32ELN6hipcub18WarpStoreAlgorithmE2EiEvPT3_S3_
		.amdhsa_group_segment_fixed_size 0
		.amdhsa_private_segment_fixed_size 0
		.amdhsa_kernarg_size 16
		.amdhsa_user_sgpr_count 2
		.amdhsa_user_sgpr_dispatch_ptr 0
		.amdhsa_user_sgpr_queue_ptr 0
		.amdhsa_user_sgpr_kernarg_segment_ptr 1
		.amdhsa_user_sgpr_dispatch_id 0
		.amdhsa_user_sgpr_kernarg_preload_length 0
		.amdhsa_user_sgpr_kernarg_preload_offset 0
		.amdhsa_user_sgpr_private_segment_size 0
		.amdhsa_wavefront_size32 1
		.amdhsa_uses_dynamic_stack 0
		.amdhsa_enable_private_segment 0
		.amdhsa_system_sgpr_workgroup_id_x 1
		.amdhsa_system_sgpr_workgroup_id_y 0
		.amdhsa_system_sgpr_workgroup_id_z 0
		.amdhsa_system_sgpr_workgroup_info 0
		.amdhsa_system_vgpr_workitem_id 0
		.amdhsa_next_free_vgpr 9
		.amdhsa_next_free_sgpr 4
		.amdhsa_named_barrier_count 0
		.amdhsa_reserve_vcc 0
		.amdhsa_float_round_mode_32 0
		.amdhsa_float_round_mode_16_64 0
		.amdhsa_float_denorm_mode_32 3
		.amdhsa_float_denorm_mode_16_64 3
		.amdhsa_fp16_overflow 0
		.amdhsa_memory_ordered 1
		.amdhsa_forward_progress 1
		.amdhsa_inst_pref_size 1
		.amdhsa_round_robin_scheduling 0
		.amdhsa_exception_fp_ieee_invalid_op 0
		.amdhsa_exception_fp_denorm_src 0
		.amdhsa_exception_fp_ieee_div_zero 0
		.amdhsa_exception_fp_ieee_overflow 0
		.amdhsa_exception_fp_ieee_underflow 0
		.amdhsa_exception_fp_ieee_inexact 0
		.amdhsa_exception_int_div_zero 0
	.end_amdhsa_kernel
	.section	.text._Z17warp_store_kernelILj1024ELj4ELj32ELN6hipcub18WarpStoreAlgorithmE2EiEvPT3_S3_,"axG",@progbits,_Z17warp_store_kernelILj1024ELj4ELj32ELN6hipcub18WarpStoreAlgorithmE2EiEvPT3_S3_,comdat
.Lfunc_end5:
	.size	_Z17warp_store_kernelILj1024ELj4ELj32ELN6hipcub18WarpStoreAlgorithmE2EiEvPT3_S3_, .Lfunc_end5-_Z17warp_store_kernelILj1024ELj4ELj32ELN6hipcub18WarpStoreAlgorithmE2EiEvPT3_S3_
                                        ; -- End function
	.set _Z17warp_store_kernelILj1024ELj4ELj32ELN6hipcub18WarpStoreAlgorithmE2EiEvPT3_S3_.num_vgpr, 9
	.set _Z17warp_store_kernelILj1024ELj4ELj32ELN6hipcub18WarpStoreAlgorithmE2EiEvPT3_S3_.num_agpr, 0
	.set _Z17warp_store_kernelILj1024ELj4ELj32ELN6hipcub18WarpStoreAlgorithmE2EiEvPT3_S3_.numbered_sgpr, 4
	.set _Z17warp_store_kernelILj1024ELj4ELj32ELN6hipcub18WarpStoreAlgorithmE2EiEvPT3_S3_.num_named_barrier, 0
	.set _Z17warp_store_kernelILj1024ELj4ELj32ELN6hipcub18WarpStoreAlgorithmE2EiEvPT3_S3_.private_seg_size, 0
	.set _Z17warp_store_kernelILj1024ELj4ELj32ELN6hipcub18WarpStoreAlgorithmE2EiEvPT3_S3_.uses_vcc, 0
	.set _Z17warp_store_kernelILj1024ELj4ELj32ELN6hipcub18WarpStoreAlgorithmE2EiEvPT3_S3_.uses_flat_scratch, 0
	.set _Z17warp_store_kernelILj1024ELj4ELj32ELN6hipcub18WarpStoreAlgorithmE2EiEvPT3_S3_.has_dyn_sized_stack, 0
	.set _Z17warp_store_kernelILj1024ELj4ELj32ELN6hipcub18WarpStoreAlgorithmE2EiEvPT3_S3_.has_recursion, 0
	.set _Z17warp_store_kernelILj1024ELj4ELj32ELN6hipcub18WarpStoreAlgorithmE2EiEvPT3_S3_.has_indirect_call, 0
	.section	.AMDGPU.csdata,"",@progbits
; Kernel info:
; codeLenInByte = 92
; TotalNumSgprs: 4
; NumVgprs: 9
; ScratchSize: 0
; MemoryBound: 0
; FloatMode: 240
; IeeeMode: 1
; LDSByteSize: 0 bytes/workgroup (compile time only)
; SGPRBlocks: 0
; VGPRBlocks: 0
; NumSGPRsForWavesPerEU: 4
; NumVGPRsForWavesPerEU: 9
; NamedBarCnt: 0
; Occupancy: 16
; WaveLimiterHint : 0
; COMPUTE_PGM_RSRC2:SCRATCH_EN: 0
; COMPUTE_PGM_RSRC2:USER_SGPR: 2
; COMPUTE_PGM_RSRC2:TRAP_HANDLER: 0
; COMPUTE_PGM_RSRC2:TGID_X_EN: 1
; COMPUTE_PGM_RSRC2:TGID_Y_EN: 0
; COMPUTE_PGM_RSRC2:TGID_Z_EN: 0
; COMPUTE_PGM_RSRC2:TIDIG_COMP_CNT: 0
	.section	.text._Z17warp_store_kernelILj1024ELj4ELj32ELN6hipcub18WarpStoreAlgorithmE1EiEvPT3_S3_,"axG",@progbits,_Z17warp_store_kernelILj1024ELj4ELj32ELN6hipcub18WarpStoreAlgorithmE1EiEvPT3_S3_,comdat
	.protected	_Z17warp_store_kernelILj1024ELj4ELj32ELN6hipcub18WarpStoreAlgorithmE1EiEvPT3_S3_ ; -- Begin function _Z17warp_store_kernelILj1024ELj4ELj32ELN6hipcub18WarpStoreAlgorithmE1EiEvPT3_S3_
	.globl	_Z17warp_store_kernelILj1024ELj4ELj32ELN6hipcub18WarpStoreAlgorithmE1EiEvPT3_S3_
	.p2align	8
	.type	_Z17warp_store_kernelILj1024ELj4ELj32ELN6hipcub18WarpStoreAlgorithmE1EiEvPT3_S3_,@function
_Z17warp_store_kernelILj1024ELj4ELj32ELN6hipcub18WarpStoreAlgorithmE1EiEvPT3_S3_: ; @_Z17warp_store_kernelILj1024ELj4ELj32ELN6hipcub18WarpStoreAlgorithmE1EiEvPT3_S3_
; %bb.0:
	s_load_b128 s[0:3], s[0:1], 0x0
	v_mbcnt_lo_u32_b32 v8, -1, 0
	v_mov_b32_e32 v1, 0
	s_wait_kmcnt 0x0
	global_load_b128 v[2:5], v0, s[0:1] scale_offset
	s_wait_xcnt 0x0
	v_lshlrev_b32_e32 v0, 4, v0
	s_delay_alu instid0(VALU_DEP_1) | instskip(NEXT) | instid1(VALU_DEP_1)
	v_and_b32_e32 v0, 0x3e00, v0
	v_add_nc_u64_e32 v[6:7], s[2:3], v[0:1]
	v_lshlrev_b32_e32 v0, 2, v8
	s_delay_alu instid0(VALU_DEP_1)
	v_add_nc_u64_e32 v[0:1], v[6:7], v[0:1]
	s_wait_loadcnt 0x0
	s_clause 0x3
	global_store_b32 v[0:1], v2, off
	global_store_b32 v[0:1], v3, off offset:128
	global_store_b32 v[0:1], v4, off offset:256
	;; [unrolled: 1-line block ×3, first 2 shown]
	s_endpgm
	.section	.rodata,"a",@progbits
	.p2align	6, 0x0
	.amdhsa_kernel _Z17warp_store_kernelILj1024ELj4ELj32ELN6hipcub18WarpStoreAlgorithmE1EiEvPT3_S3_
		.amdhsa_group_segment_fixed_size 0
		.amdhsa_private_segment_fixed_size 0
		.amdhsa_kernarg_size 16
		.amdhsa_user_sgpr_count 2
		.amdhsa_user_sgpr_dispatch_ptr 0
		.amdhsa_user_sgpr_queue_ptr 0
		.amdhsa_user_sgpr_kernarg_segment_ptr 1
		.amdhsa_user_sgpr_dispatch_id 0
		.amdhsa_user_sgpr_kernarg_preload_length 0
		.amdhsa_user_sgpr_kernarg_preload_offset 0
		.amdhsa_user_sgpr_private_segment_size 0
		.amdhsa_wavefront_size32 1
		.amdhsa_uses_dynamic_stack 0
		.amdhsa_enable_private_segment 0
		.amdhsa_system_sgpr_workgroup_id_x 1
		.amdhsa_system_sgpr_workgroup_id_y 0
		.amdhsa_system_sgpr_workgroup_id_z 0
		.amdhsa_system_sgpr_workgroup_info 0
		.amdhsa_system_vgpr_workitem_id 0
		.amdhsa_next_free_vgpr 9
		.amdhsa_next_free_sgpr 4
		.amdhsa_named_barrier_count 0
		.amdhsa_reserve_vcc 0
		.amdhsa_float_round_mode_32 0
		.amdhsa_float_round_mode_16_64 0
		.amdhsa_float_denorm_mode_32 3
		.amdhsa_float_denorm_mode_16_64 3
		.amdhsa_fp16_overflow 0
		.amdhsa_memory_ordered 1
		.amdhsa_forward_progress 1
		.amdhsa_inst_pref_size 2
		.amdhsa_round_robin_scheduling 0
		.amdhsa_exception_fp_ieee_invalid_op 0
		.amdhsa_exception_fp_denorm_src 0
		.amdhsa_exception_fp_ieee_div_zero 0
		.amdhsa_exception_fp_ieee_overflow 0
		.amdhsa_exception_fp_ieee_underflow 0
		.amdhsa_exception_fp_ieee_inexact 0
		.amdhsa_exception_int_div_zero 0
	.end_amdhsa_kernel
	.section	.text._Z17warp_store_kernelILj1024ELj4ELj32ELN6hipcub18WarpStoreAlgorithmE1EiEvPT3_S3_,"axG",@progbits,_Z17warp_store_kernelILj1024ELj4ELj32ELN6hipcub18WarpStoreAlgorithmE1EiEvPT3_S3_,comdat
.Lfunc_end6:
	.size	_Z17warp_store_kernelILj1024ELj4ELj32ELN6hipcub18WarpStoreAlgorithmE1EiEvPT3_S3_, .Lfunc_end6-_Z17warp_store_kernelILj1024ELj4ELj32ELN6hipcub18WarpStoreAlgorithmE1EiEvPT3_S3_
                                        ; -- End function
	.set _Z17warp_store_kernelILj1024ELj4ELj32ELN6hipcub18WarpStoreAlgorithmE1EiEvPT3_S3_.num_vgpr, 9
	.set _Z17warp_store_kernelILj1024ELj4ELj32ELN6hipcub18WarpStoreAlgorithmE1EiEvPT3_S3_.num_agpr, 0
	.set _Z17warp_store_kernelILj1024ELj4ELj32ELN6hipcub18WarpStoreAlgorithmE1EiEvPT3_S3_.numbered_sgpr, 4
	.set _Z17warp_store_kernelILj1024ELj4ELj32ELN6hipcub18WarpStoreAlgorithmE1EiEvPT3_S3_.num_named_barrier, 0
	.set _Z17warp_store_kernelILj1024ELj4ELj32ELN6hipcub18WarpStoreAlgorithmE1EiEvPT3_S3_.private_seg_size, 0
	.set _Z17warp_store_kernelILj1024ELj4ELj32ELN6hipcub18WarpStoreAlgorithmE1EiEvPT3_S3_.uses_vcc, 0
	.set _Z17warp_store_kernelILj1024ELj4ELj32ELN6hipcub18WarpStoreAlgorithmE1EiEvPT3_S3_.uses_flat_scratch, 0
	.set _Z17warp_store_kernelILj1024ELj4ELj32ELN6hipcub18WarpStoreAlgorithmE1EiEvPT3_S3_.has_dyn_sized_stack, 0
	.set _Z17warp_store_kernelILj1024ELj4ELj32ELN6hipcub18WarpStoreAlgorithmE1EiEvPT3_S3_.has_recursion, 0
	.set _Z17warp_store_kernelILj1024ELj4ELj32ELN6hipcub18WarpStoreAlgorithmE1EiEvPT3_S3_.has_indirect_call, 0
	.section	.AMDGPU.csdata,"",@progbits
; Kernel info:
; codeLenInByte = 132
; TotalNumSgprs: 4
; NumVgprs: 9
; ScratchSize: 0
; MemoryBound: 0
; FloatMode: 240
; IeeeMode: 1
; LDSByteSize: 0 bytes/workgroup (compile time only)
; SGPRBlocks: 0
; VGPRBlocks: 0
; NumSGPRsForWavesPerEU: 4
; NumVGPRsForWavesPerEU: 9
; NamedBarCnt: 0
; Occupancy: 16
; WaveLimiterHint : 1
; COMPUTE_PGM_RSRC2:SCRATCH_EN: 0
; COMPUTE_PGM_RSRC2:USER_SGPR: 2
; COMPUTE_PGM_RSRC2:TRAP_HANDLER: 0
; COMPUTE_PGM_RSRC2:TGID_X_EN: 1
; COMPUTE_PGM_RSRC2:TGID_Y_EN: 0
; COMPUTE_PGM_RSRC2:TGID_Z_EN: 0
; COMPUTE_PGM_RSRC2:TIDIG_COMP_CNT: 0
	.section	.text._Z17warp_store_kernelILj1024ELj4ELj32ELN6hipcub18WarpStoreAlgorithmE0EiEvPT3_S3_,"axG",@progbits,_Z17warp_store_kernelILj1024ELj4ELj32ELN6hipcub18WarpStoreAlgorithmE0EiEvPT3_S3_,comdat
	.protected	_Z17warp_store_kernelILj1024ELj4ELj32ELN6hipcub18WarpStoreAlgorithmE0EiEvPT3_S3_ ; -- Begin function _Z17warp_store_kernelILj1024ELj4ELj32ELN6hipcub18WarpStoreAlgorithmE0EiEvPT3_S3_
	.globl	_Z17warp_store_kernelILj1024ELj4ELj32ELN6hipcub18WarpStoreAlgorithmE0EiEvPT3_S3_
	.p2align	8
	.type	_Z17warp_store_kernelILj1024ELj4ELj32ELN6hipcub18WarpStoreAlgorithmE0EiEvPT3_S3_,@function
_Z17warp_store_kernelILj1024ELj4ELj32ELN6hipcub18WarpStoreAlgorithmE0EiEvPT3_S3_: ; @_Z17warp_store_kernelILj1024ELj4ELj32ELN6hipcub18WarpStoreAlgorithmE0EiEvPT3_S3_
; %bb.0:
	s_load_b128 s[0:3], s[0:1], 0x0
	v_mbcnt_lo_u32_b32 v8, -1, 0
	v_mov_b32_e32 v1, 0
	s_wait_kmcnt 0x0
	global_load_b128 v[2:5], v0, s[0:1] scale_offset
	s_wait_xcnt 0x0
	v_lshlrev_b32_e32 v0, 4, v0
	s_delay_alu instid0(VALU_DEP_1) | instskip(NEXT) | instid1(VALU_DEP_1)
	v_and_b32_e32 v0, 0x3e00, v0
	v_add_nc_u64_e32 v[6:7], s[2:3], v[0:1]
	v_lshlrev_b32_e32 v0, 4, v8
	s_delay_alu instid0(VALU_DEP_1)
	v_add_nc_u64_e32 v[0:1], v[6:7], v[0:1]
	s_wait_loadcnt 0x0
	global_store_b128 v[0:1], v[2:5], off
	s_endpgm
	.section	.rodata,"a",@progbits
	.p2align	6, 0x0
	.amdhsa_kernel _Z17warp_store_kernelILj1024ELj4ELj32ELN6hipcub18WarpStoreAlgorithmE0EiEvPT3_S3_
		.amdhsa_group_segment_fixed_size 0
		.amdhsa_private_segment_fixed_size 0
		.amdhsa_kernarg_size 16
		.amdhsa_user_sgpr_count 2
		.amdhsa_user_sgpr_dispatch_ptr 0
		.amdhsa_user_sgpr_queue_ptr 0
		.amdhsa_user_sgpr_kernarg_segment_ptr 1
		.amdhsa_user_sgpr_dispatch_id 0
		.amdhsa_user_sgpr_kernarg_preload_length 0
		.amdhsa_user_sgpr_kernarg_preload_offset 0
		.amdhsa_user_sgpr_private_segment_size 0
		.amdhsa_wavefront_size32 1
		.amdhsa_uses_dynamic_stack 0
		.amdhsa_enable_private_segment 0
		.amdhsa_system_sgpr_workgroup_id_x 1
		.amdhsa_system_sgpr_workgroup_id_y 0
		.amdhsa_system_sgpr_workgroup_id_z 0
		.amdhsa_system_sgpr_workgroup_info 0
		.amdhsa_system_vgpr_workitem_id 0
		.amdhsa_next_free_vgpr 9
		.amdhsa_next_free_sgpr 4
		.amdhsa_named_barrier_count 0
		.amdhsa_reserve_vcc 0
		.amdhsa_float_round_mode_32 0
		.amdhsa_float_round_mode_16_64 0
		.amdhsa_float_denorm_mode_32 3
		.amdhsa_float_denorm_mode_16_64 3
		.amdhsa_fp16_overflow 0
		.amdhsa_memory_ordered 1
		.amdhsa_forward_progress 1
		.amdhsa_inst_pref_size 1
		.amdhsa_round_robin_scheduling 0
		.amdhsa_exception_fp_ieee_invalid_op 0
		.amdhsa_exception_fp_denorm_src 0
		.amdhsa_exception_fp_ieee_div_zero 0
		.amdhsa_exception_fp_ieee_overflow 0
		.amdhsa_exception_fp_ieee_underflow 0
		.amdhsa_exception_fp_ieee_inexact 0
		.amdhsa_exception_int_div_zero 0
	.end_amdhsa_kernel
	.section	.text._Z17warp_store_kernelILj1024ELj4ELj32ELN6hipcub18WarpStoreAlgorithmE0EiEvPT3_S3_,"axG",@progbits,_Z17warp_store_kernelILj1024ELj4ELj32ELN6hipcub18WarpStoreAlgorithmE0EiEvPT3_S3_,comdat
.Lfunc_end7:
	.size	_Z17warp_store_kernelILj1024ELj4ELj32ELN6hipcub18WarpStoreAlgorithmE0EiEvPT3_S3_, .Lfunc_end7-_Z17warp_store_kernelILj1024ELj4ELj32ELN6hipcub18WarpStoreAlgorithmE0EiEvPT3_S3_
                                        ; -- End function
	.set _Z17warp_store_kernelILj1024ELj4ELj32ELN6hipcub18WarpStoreAlgorithmE0EiEvPT3_S3_.num_vgpr, 9
	.set _Z17warp_store_kernelILj1024ELj4ELj32ELN6hipcub18WarpStoreAlgorithmE0EiEvPT3_S3_.num_agpr, 0
	.set _Z17warp_store_kernelILj1024ELj4ELj32ELN6hipcub18WarpStoreAlgorithmE0EiEvPT3_S3_.numbered_sgpr, 4
	.set _Z17warp_store_kernelILj1024ELj4ELj32ELN6hipcub18WarpStoreAlgorithmE0EiEvPT3_S3_.num_named_barrier, 0
	.set _Z17warp_store_kernelILj1024ELj4ELj32ELN6hipcub18WarpStoreAlgorithmE0EiEvPT3_S3_.private_seg_size, 0
	.set _Z17warp_store_kernelILj1024ELj4ELj32ELN6hipcub18WarpStoreAlgorithmE0EiEvPT3_S3_.uses_vcc, 0
	.set _Z17warp_store_kernelILj1024ELj4ELj32ELN6hipcub18WarpStoreAlgorithmE0EiEvPT3_S3_.uses_flat_scratch, 0
	.set _Z17warp_store_kernelILj1024ELj4ELj32ELN6hipcub18WarpStoreAlgorithmE0EiEvPT3_S3_.has_dyn_sized_stack, 0
	.set _Z17warp_store_kernelILj1024ELj4ELj32ELN6hipcub18WarpStoreAlgorithmE0EiEvPT3_S3_.has_recursion, 0
	.set _Z17warp_store_kernelILj1024ELj4ELj32ELN6hipcub18WarpStoreAlgorithmE0EiEvPT3_S3_.has_indirect_call, 0
	.section	.AMDGPU.csdata,"",@progbits
; Kernel info:
; codeLenInByte = 92
; TotalNumSgprs: 4
; NumVgprs: 9
; ScratchSize: 0
; MemoryBound: 0
; FloatMode: 240
; IeeeMode: 1
; LDSByteSize: 0 bytes/workgroup (compile time only)
; SGPRBlocks: 0
; VGPRBlocks: 0
; NumSGPRsForWavesPerEU: 4
; NumVGPRsForWavesPerEU: 9
; NamedBarCnt: 0
; Occupancy: 16
; WaveLimiterHint : 0
; COMPUTE_PGM_RSRC2:SCRATCH_EN: 0
; COMPUTE_PGM_RSRC2:USER_SGPR: 2
; COMPUTE_PGM_RSRC2:TRAP_HANDLER: 0
; COMPUTE_PGM_RSRC2:TGID_X_EN: 1
; COMPUTE_PGM_RSRC2:TGID_Y_EN: 0
; COMPUTE_PGM_RSRC2:TGID_Z_EN: 0
; COMPUTE_PGM_RSRC2:TIDIG_COMP_CNT: 0
	.section	.text._Z17warp_store_kernelILj1024ELj4ELj16ELN6hipcub18WarpStoreAlgorithmE3EiEvPT3_S3_,"axG",@progbits,_Z17warp_store_kernelILj1024ELj4ELj16ELN6hipcub18WarpStoreAlgorithmE3EiEvPT3_S3_,comdat
	.protected	_Z17warp_store_kernelILj1024ELj4ELj16ELN6hipcub18WarpStoreAlgorithmE3EiEvPT3_S3_ ; -- Begin function _Z17warp_store_kernelILj1024ELj4ELj16ELN6hipcub18WarpStoreAlgorithmE3EiEvPT3_S3_
	.globl	_Z17warp_store_kernelILj1024ELj4ELj16ELN6hipcub18WarpStoreAlgorithmE3EiEvPT3_S3_
	.p2align	8
	.type	_Z17warp_store_kernelILj1024ELj4ELj16ELN6hipcub18WarpStoreAlgorithmE3EiEvPT3_S3_,@function
_Z17warp_store_kernelILj1024ELj4ELj16ELN6hipcub18WarpStoreAlgorithmE3EiEvPT3_S3_: ; @_Z17warp_store_kernelILj1024ELj4ELj16ELN6hipcub18WarpStoreAlgorithmE3EiEvPT3_S3_
; %bb.0:
	s_load_b128 s[0:3], s[0:1], 0x0
	v_mbcnt_lo_u32_b32 v1, -1, 0
	s_delay_alu instid0(VALU_DEP_1) | instskip(SKIP_4) | instid1(VALU_DEP_1)
	v_and_b32_e32 v8, 15, v1
	s_wait_kmcnt 0x0
	global_load_b128 v[2:5], v0, s[0:1] scale_offset
	s_wait_xcnt 0x0
	v_lshlrev_b32_e32 v0, 4, v0
	v_and_b32_e32 v0, 0x3f00, v0
	s_delay_alu instid0(VALU_DEP_1) | instskip(NEXT) | instid1(VALU_DEP_1)
	v_lshl_or_b32 v1, v8, 4, v0
	v_mad_i32_i24 v6, v8, -12, v1
	s_wait_loadcnt 0x0
	ds_store_b128 v1, v[2:5]
	; wave barrier
	ds_load_2addr_b32 v[2:3], v6 offset1:16
	v_mov_b32_e32 v1, 0
	ds_load_2addr_b32 v[4:5], v6 offset0:32 offset1:48
	v_add_nc_u64_e32 v[6:7], s[2:3], v[0:1]
	v_lshlrev_b32_e32 v0, 2, v8
	s_delay_alu instid0(VALU_DEP_1)
	v_add_nc_u64_e32 v[0:1], v[6:7], v[0:1]
	s_wait_dscnt 0x1
	s_clause 0x1
	global_store_b32 v[0:1], v2, off
	global_store_b32 v[0:1], v3, off offset:64
	s_wait_dscnt 0x0
	s_clause 0x1
	global_store_b32 v[0:1], v4, off offset:128
	global_store_b32 v[0:1], v5, off offset:192
	s_endpgm
	.section	.rodata,"a",@progbits
	.p2align	6, 0x0
	.amdhsa_kernel _Z17warp_store_kernelILj1024ELj4ELj16ELN6hipcub18WarpStoreAlgorithmE3EiEvPT3_S3_
		.amdhsa_group_segment_fixed_size 16384
		.amdhsa_private_segment_fixed_size 0
		.amdhsa_kernarg_size 16
		.amdhsa_user_sgpr_count 2
		.amdhsa_user_sgpr_dispatch_ptr 0
		.amdhsa_user_sgpr_queue_ptr 0
		.amdhsa_user_sgpr_kernarg_segment_ptr 1
		.amdhsa_user_sgpr_dispatch_id 0
		.amdhsa_user_sgpr_kernarg_preload_length 0
		.amdhsa_user_sgpr_kernarg_preload_offset 0
		.amdhsa_user_sgpr_private_segment_size 0
		.amdhsa_wavefront_size32 1
		.amdhsa_uses_dynamic_stack 0
		.amdhsa_enable_private_segment 0
		.amdhsa_system_sgpr_workgroup_id_x 1
		.amdhsa_system_sgpr_workgroup_id_y 0
		.amdhsa_system_sgpr_workgroup_id_z 0
		.amdhsa_system_sgpr_workgroup_info 0
		.amdhsa_system_vgpr_workitem_id 0
		.amdhsa_next_free_vgpr 9
		.amdhsa_next_free_sgpr 4
		.amdhsa_named_barrier_count 0
		.amdhsa_reserve_vcc 0
		.amdhsa_float_round_mode_32 0
		.amdhsa_float_round_mode_16_64 0
		.amdhsa_float_denorm_mode_32 3
		.amdhsa_float_denorm_mode_16_64 3
		.amdhsa_fp16_overflow 0
		.amdhsa_memory_ordered 1
		.amdhsa_forward_progress 1
		.amdhsa_inst_pref_size 2
		.amdhsa_round_robin_scheduling 0
		.amdhsa_exception_fp_ieee_invalid_op 0
		.amdhsa_exception_fp_denorm_src 0
		.amdhsa_exception_fp_ieee_div_zero 0
		.amdhsa_exception_fp_ieee_overflow 0
		.amdhsa_exception_fp_ieee_underflow 0
		.amdhsa_exception_fp_ieee_inexact 0
		.amdhsa_exception_int_div_zero 0
	.end_amdhsa_kernel
	.section	.text._Z17warp_store_kernelILj1024ELj4ELj16ELN6hipcub18WarpStoreAlgorithmE3EiEvPT3_S3_,"axG",@progbits,_Z17warp_store_kernelILj1024ELj4ELj16ELN6hipcub18WarpStoreAlgorithmE3EiEvPT3_S3_,comdat
.Lfunc_end8:
	.size	_Z17warp_store_kernelILj1024ELj4ELj16ELN6hipcub18WarpStoreAlgorithmE3EiEvPT3_S3_, .Lfunc_end8-_Z17warp_store_kernelILj1024ELj4ELj16ELN6hipcub18WarpStoreAlgorithmE3EiEvPT3_S3_
                                        ; -- End function
	.set _Z17warp_store_kernelILj1024ELj4ELj16ELN6hipcub18WarpStoreAlgorithmE3EiEvPT3_S3_.num_vgpr, 9
	.set _Z17warp_store_kernelILj1024ELj4ELj16ELN6hipcub18WarpStoreAlgorithmE3EiEvPT3_S3_.num_agpr, 0
	.set _Z17warp_store_kernelILj1024ELj4ELj16ELN6hipcub18WarpStoreAlgorithmE3EiEvPT3_S3_.numbered_sgpr, 4
	.set _Z17warp_store_kernelILj1024ELj4ELj16ELN6hipcub18WarpStoreAlgorithmE3EiEvPT3_S3_.num_named_barrier, 0
	.set _Z17warp_store_kernelILj1024ELj4ELj16ELN6hipcub18WarpStoreAlgorithmE3EiEvPT3_S3_.private_seg_size, 0
	.set _Z17warp_store_kernelILj1024ELj4ELj16ELN6hipcub18WarpStoreAlgorithmE3EiEvPT3_S3_.uses_vcc, 0
	.set _Z17warp_store_kernelILj1024ELj4ELj16ELN6hipcub18WarpStoreAlgorithmE3EiEvPT3_S3_.uses_flat_scratch, 0
	.set _Z17warp_store_kernelILj1024ELj4ELj16ELN6hipcub18WarpStoreAlgorithmE3EiEvPT3_S3_.has_dyn_sized_stack, 0
	.set _Z17warp_store_kernelILj1024ELj4ELj16ELN6hipcub18WarpStoreAlgorithmE3EiEvPT3_S3_.has_recursion, 0
	.set _Z17warp_store_kernelILj1024ELj4ELj16ELN6hipcub18WarpStoreAlgorithmE3EiEvPT3_S3_.has_indirect_call, 0
	.section	.AMDGPU.csdata,"",@progbits
; Kernel info:
; codeLenInByte = 192
; TotalNumSgprs: 4
; NumVgprs: 9
; ScratchSize: 0
; MemoryBound: 0
; FloatMode: 240
; IeeeMode: 1
; LDSByteSize: 16384 bytes/workgroup (compile time only)
; SGPRBlocks: 0
; VGPRBlocks: 0
; NumSGPRsForWavesPerEU: 4
; NumVGPRsForWavesPerEU: 9
; NamedBarCnt: 0
; Occupancy: 16
; WaveLimiterHint : 0
; COMPUTE_PGM_RSRC2:SCRATCH_EN: 0
; COMPUTE_PGM_RSRC2:USER_SGPR: 2
; COMPUTE_PGM_RSRC2:TRAP_HANDLER: 0
; COMPUTE_PGM_RSRC2:TGID_X_EN: 1
; COMPUTE_PGM_RSRC2:TGID_Y_EN: 0
; COMPUTE_PGM_RSRC2:TGID_Z_EN: 0
; COMPUTE_PGM_RSRC2:TIDIG_COMP_CNT: 0
	.section	.text._Z17warp_store_kernelILj1024ELj4ELj16ELN6hipcub18WarpStoreAlgorithmE2EiEvPT3_S3_,"axG",@progbits,_Z17warp_store_kernelILj1024ELj4ELj16ELN6hipcub18WarpStoreAlgorithmE2EiEvPT3_S3_,comdat
	.protected	_Z17warp_store_kernelILj1024ELj4ELj16ELN6hipcub18WarpStoreAlgorithmE2EiEvPT3_S3_ ; -- Begin function _Z17warp_store_kernelILj1024ELj4ELj16ELN6hipcub18WarpStoreAlgorithmE2EiEvPT3_S3_
	.globl	_Z17warp_store_kernelILj1024ELj4ELj16ELN6hipcub18WarpStoreAlgorithmE2EiEvPT3_S3_
	.p2align	8
	.type	_Z17warp_store_kernelILj1024ELj4ELj16ELN6hipcub18WarpStoreAlgorithmE2EiEvPT3_S3_,@function
_Z17warp_store_kernelILj1024ELj4ELj16ELN6hipcub18WarpStoreAlgorithmE2EiEvPT3_S3_: ; @_Z17warp_store_kernelILj1024ELj4ELj16ELN6hipcub18WarpStoreAlgorithmE2EiEvPT3_S3_
; %bb.0:
	s_load_b128 s[0:3], s[0:1], 0x0
	v_mbcnt_lo_u32_b32 v6, -1, 0
	s_delay_alu instid0(VALU_DEP_1) | instskip(SKIP_4) | instid1(VALU_DEP_1)
	v_dual_mov_b32 v1, 0 :: v_dual_bitop2_b32 v8, 15, v6 bitop3:0x40
	s_wait_kmcnt 0x0
	global_load_b128 v[2:5], v0, s[0:1] scale_offset
	s_wait_xcnt 0x0
	v_lshlrev_b32_e32 v0, 4, v0
	v_and_b32_e32 v0, 0x3f00, v0
	s_delay_alu instid0(VALU_DEP_1) | instskip(SKIP_1) | instid1(VALU_DEP_1)
	v_add_nc_u64_e32 v[6:7], s[2:3], v[0:1]
	v_lshlrev_b32_e32 v0, 4, v8
	v_add_nc_u64_e32 v[0:1], v[6:7], v[0:1]
	s_wait_loadcnt 0x0
	global_store_b128 v[0:1], v[2:5], off
	s_endpgm
	.section	.rodata,"a",@progbits
	.p2align	6, 0x0
	.amdhsa_kernel _Z17warp_store_kernelILj1024ELj4ELj16ELN6hipcub18WarpStoreAlgorithmE2EiEvPT3_S3_
		.amdhsa_group_segment_fixed_size 0
		.amdhsa_private_segment_fixed_size 0
		.amdhsa_kernarg_size 16
		.amdhsa_user_sgpr_count 2
		.amdhsa_user_sgpr_dispatch_ptr 0
		.amdhsa_user_sgpr_queue_ptr 0
		.amdhsa_user_sgpr_kernarg_segment_ptr 1
		.amdhsa_user_sgpr_dispatch_id 0
		.amdhsa_user_sgpr_kernarg_preload_length 0
		.amdhsa_user_sgpr_kernarg_preload_offset 0
		.amdhsa_user_sgpr_private_segment_size 0
		.amdhsa_wavefront_size32 1
		.amdhsa_uses_dynamic_stack 0
		.amdhsa_enable_private_segment 0
		.amdhsa_system_sgpr_workgroup_id_x 1
		.amdhsa_system_sgpr_workgroup_id_y 0
		.amdhsa_system_sgpr_workgroup_id_z 0
		.amdhsa_system_sgpr_workgroup_info 0
		.amdhsa_system_vgpr_workitem_id 0
		.amdhsa_next_free_vgpr 9
		.amdhsa_next_free_sgpr 4
		.amdhsa_named_barrier_count 0
		.amdhsa_reserve_vcc 0
		.amdhsa_float_round_mode_32 0
		.amdhsa_float_round_mode_16_64 0
		.amdhsa_float_denorm_mode_32 3
		.amdhsa_float_denorm_mode_16_64 3
		.amdhsa_fp16_overflow 0
		.amdhsa_memory_ordered 1
		.amdhsa_forward_progress 1
		.amdhsa_inst_pref_size 1
		.amdhsa_round_robin_scheduling 0
		.amdhsa_exception_fp_ieee_invalid_op 0
		.amdhsa_exception_fp_denorm_src 0
		.amdhsa_exception_fp_ieee_div_zero 0
		.amdhsa_exception_fp_ieee_overflow 0
		.amdhsa_exception_fp_ieee_underflow 0
		.amdhsa_exception_fp_ieee_inexact 0
		.amdhsa_exception_int_div_zero 0
	.end_amdhsa_kernel
	.section	.text._Z17warp_store_kernelILj1024ELj4ELj16ELN6hipcub18WarpStoreAlgorithmE2EiEvPT3_S3_,"axG",@progbits,_Z17warp_store_kernelILj1024ELj4ELj16ELN6hipcub18WarpStoreAlgorithmE2EiEvPT3_S3_,comdat
.Lfunc_end9:
	.size	_Z17warp_store_kernelILj1024ELj4ELj16ELN6hipcub18WarpStoreAlgorithmE2EiEvPT3_S3_, .Lfunc_end9-_Z17warp_store_kernelILj1024ELj4ELj16ELN6hipcub18WarpStoreAlgorithmE2EiEvPT3_S3_
                                        ; -- End function
	.set _Z17warp_store_kernelILj1024ELj4ELj16ELN6hipcub18WarpStoreAlgorithmE2EiEvPT3_S3_.num_vgpr, 9
	.set _Z17warp_store_kernelILj1024ELj4ELj16ELN6hipcub18WarpStoreAlgorithmE2EiEvPT3_S3_.num_agpr, 0
	.set _Z17warp_store_kernelILj1024ELj4ELj16ELN6hipcub18WarpStoreAlgorithmE2EiEvPT3_S3_.numbered_sgpr, 4
	.set _Z17warp_store_kernelILj1024ELj4ELj16ELN6hipcub18WarpStoreAlgorithmE2EiEvPT3_S3_.num_named_barrier, 0
	.set _Z17warp_store_kernelILj1024ELj4ELj16ELN6hipcub18WarpStoreAlgorithmE2EiEvPT3_S3_.private_seg_size, 0
	.set _Z17warp_store_kernelILj1024ELj4ELj16ELN6hipcub18WarpStoreAlgorithmE2EiEvPT3_S3_.uses_vcc, 0
	.set _Z17warp_store_kernelILj1024ELj4ELj16ELN6hipcub18WarpStoreAlgorithmE2EiEvPT3_S3_.uses_flat_scratch, 0
	.set _Z17warp_store_kernelILj1024ELj4ELj16ELN6hipcub18WarpStoreAlgorithmE2EiEvPT3_S3_.has_dyn_sized_stack, 0
	.set _Z17warp_store_kernelILj1024ELj4ELj16ELN6hipcub18WarpStoreAlgorithmE2EiEvPT3_S3_.has_recursion, 0
	.set _Z17warp_store_kernelILj1024ELj4ELj16ELN6hipcub18WarpStoreAlgorithmE2EiEvPT3_S3_.has_indirect_call, 0
	.section	.AMDGPU.csdata,"",@progbits
; Kernel info:
; codeLenInByte = 100
; TotalNumSgprs: 4
; NumVgprs: 9
; ScratchSize: 0
; MemoryBound: 0
; FloatMode: 240
; IeeeMode: 1
; LDSByteSize: 0 bytes/workgroup (compile time only)
; SGPRBlocks: 0
; VGPRBlocks: 0
; NumSGPRsForWavesPerEU: 4
; NumVGPRsForWavesPerEU: 9
; NamedBarCnt: 0
; Occupancy: 16
; WaveLimiterHint : 0
; COMPUTE_PGM_RSRC2:SCRATCH_EN: 0
; COMPUTE_PGM_RSRC2:USER_SGPR: 2
; COMPUTE_PGM_RSRC2:TRAP_HANDLER: 0
; COMPUTE_PGM_RSRC2:TGID_X_EN: 1
; COMPUTE_PGM_RSRC2:TGID_Y_EN: 0
; COMPUTE_PGM_RSRC2:TGID_Z_EN: 0
; COMPUTE_PGM_RSRC2:TIDIG_COMP_CNT: 0
	.section	.text._Z17warp_store_kernelILj1024ELj4ELj16ELN6hipcub18WarpStoreAlgorithmE1EiEvPT3_S3_,"axG",@progbits,_Z17warp_store_kernelILj1024ELj4ELj16ELN6hipcub18WarpStoreAlgorithmE1EiEvPT3_S3_,comdat
	.protected	_Z17warp_store_kernelILj1024ELj4ELj16ELN6hipcub18WarpStoreAlgorithmE1EiEvPT3_S3_ ; -- Begin function _Z17warp_store_kernelILj1024ELj4ELj16ELN6hipcub18WarpStoreAlgorithmE1EiEvPT3_S3_
	.globl	_Z17warp_store_kernelILj1024ELj4ELj16ELN6hipcub18WarpStoreAlgorithmE1EiEvPT3_S3_
	.p2align	8
	.type	_Z17warp_store_kernelILj1024ELj4ELj16ELN6hipcub18WarpStoreAlgorithmE1EiEvPT3_S3_,@function
_Z17warp_store_kernelILj1024ELj4ELj16ELN6hipcub18WarpStoreAlgorithmE1EiEvPT3_S3_: ; @_Z17warp_store_kernelILj1024ELj4ELj16ELN6hipcub18WarpStoreAlgorithmE1EiEvPT3_S3_
; %bb.0:
	s_load_b128 s[0:3], s[0:1], 0x0
	v_mbcnt_lo_u32_b32 v6, -1, 0
	s_delay_alu instid0(VALU_DEP_1) | instskip(SKIP_4) | instid1(VALU_DEP_1)
	v_dual_mov_b32 v1, 0 :: v_dual_bitop2_b32 v8, 15, v6 bitop3:0x40
	s_wait_kmcnt 0x0
	global_load_b128 v[2:5], v0, s[0:1] scale_offset
	s_wait_xcnt 0x0
	v_lshlrev_b32_e32 v0, 4, v0
	v_and_b32_e32 v0, 0x3f00, v0
	s_delay_alu instid0(VALU_DEP_1) | instskip(SKIP_1) | instid1(VALU_DEP_1)
	v_add_nc_u64_e32 v[6:7], s[2:3], v[0:1]
	v_lshlrev_b32_e32 v0, 2, v8
	v_add_nc_u64_e32 v[0:1], v[6:7], v[0:1]
	s_wait_loadcnt 0x0
	s_clause 0x3
	global_store_b32 v[0:1], v2, off
	global_store_b32 v[0:1], v3, off offset:64
	global_store_b32 v[0:1], v4, off offset:128
	;; [unrolled: 1-line block ×3, first 2 shown]
	s_endpgm
	.section	.rodata,"a",@progbits
	.p2align	6, 0x0
	.amdhsa_kernel _Z17warp_store_kernelILj1024ELj4ELj16ELN6hipcub18WarpStoreAlgorithmE1EiEvPT3_S3_
		.amdhsa_group_segment_fixed_size 0
		.amdhsa_private_segment_fixed_size 0
		.amdhsa_kernarg_size 16
		.amdhsa_user_sgpr_count 2
		.amdhsa_user_sgpr_dispatch_ptr 0
		.amdhsa_user_sgpr_queue_ptr 0
		.amdhsa_user_sgpr_kernarg_segment_ptr 1
		.amdhsa_user_sgpr_dispatch_id 0
		.amdhsa_user_sgpr_kernarg_preload_length 0
		.amdhsa_user_sgpr_kernarg_preload_offset 0
		.amdhsa_user_sgpr_private_segment_size 0
		.amdhsa_wavefront_size32 1
		.amdhsa_uses_dynamic_stack 0
		.amdhsa_enable_private_segment 0
		.amdhsa_system_sgpr_workgroup_id_x 1
		.amdhsa_system_sgpr_workgroup_id_y 0
		.amdhsa_system_sgpr_workgroup_id_z 0
		.amdhsa_system_sgpr_workgroup_info 0
		.amdhsa_system_vgpr_workitem_id 0
		.amdhsa_next_free_vgpr 9
		.amdhsa_next_free_sgpr 4
		.amdhsa_named_barrier_count 0
		.amdhsa_reserve_vcc 0
		.amdhsa_float_round_mode_32 0
		.amdhsa_float_round_mode_16_64 0
		.amdhsa_float_denorm_mode_32 3
		.amdhsa_float_denorm_mode_16_64 3
		.amdhsa_fp16_overflow 0
		.amdhsa_memory_ordered 1
		.amdhsa_forward_progress 1
		.amdhsa_inst_pref_size 2
		.amdhsa_round_robin_scheduling 0
		.amdhsa_exception_fp_ieee_invalid_op 0
		.amdhsa_exception_fp_denorm_src 0
		.amdhsa_exception_fp_ieee_div_zero 0
		.amdhsa_exception_fp_ieee_overflow 0
		.amdhsa_exception_fp_ieee_underflow 0
		.amdhsa_exception_fp_ieee_inexact 0
		.amdhsa_exception_int_div_zero 0
	.end_amdhsa_kernel
	.section	.text._Z17warp_store_kernelILj1024ELj4ELj16ELN6hipcub18WarpStoreAlgorithmE1EiEvPT3_S3_,"axG",@progbits,_Z17warp_store_kernelILj1024ELj4ELj16ELN6hipcub18WarpStoreAlgorithmE1EiEvPT3_S3_,comdat
.Lfunc_end10:
	.size	_Z17warp_store_kernelILj1024ELj4ELj16ELN6hipcub18WarpStoreAlgorithmE1EiEvPT3_S3_, .Lfunc_end10-_Z17warp_store_kernelILj1024ELj4ELj16ELN6hipcub18WarpStoreAlgorithmE1EiEvPT3_S3_
                                        ; -- End function
	.set _Z17warp_store_kernelILj1024ELj4ELj16ELN6hipcub18WarpStoreAlgorithmE1EiEvPT3_S3_.num_vgpr, 9
	.set _Z17warp_store_kernelILj1024ELj4ELj16ELN6hipcub18WarpStoreAlgorithmE1EiEvPT3_S3_.num_agpr, 0
	.set _Z17warp_store_kernelILj1024ELj4ELj16ELN6hipcub18WarpStoreAlgorithmE1EiEvPT3_S3_.numbered_sgpr, 4
	.set _Z17warp_store_kernelILj1024ELj4ELj16ELN6hipcub18WarpStoreAlgorithmE1EiEvPT3_S3_.num_named_barrier, 0
	.set _Z17warp_store_kernelILj1024ELj4ELj16ELN6hipcub18WarpStoreAlgorithmE1EiEvPT3_S3_.private_seg_size, 0
	.set _Z17warp_store_kernelILj1024ELj4ELj16ELN6hipcub18WarpStoreAlgorithmE1EiEvPT3_S3_.uses_vcc, 0
	.set _Z17warp_store_kernelILj1024ELj4ELj16ELN6hipcub18WarpStoreAlgorithmE1EiEvPT3_S3_.uses_flat_scratch, 0
	.set _Z17warp_store_kernelILj1024ELj4ELj16ELN6hipcub18WarpStoreAlgorithmE1EiEvPT3_S3_.has_dyn_sized_stack, 0
	.set _Z17warp_store_kernelILj1024ELj4ELj16ELN6hipcub18WarpStoreAlgorithmE1EiEvPT3_S3_.has_recursion, 0
	.set _Z17warp_store_kernelILj1024ELj4ELj16ELN6hipcub18WarpStoreAlgorithmE1EiEvPT3_S3_.has_indirect_call, 0
	.section	.AMDGPU.csdata,"",@progbits
; Kernel info:
; codeLenInByte = 140
; TotalNumSgprs: 4
; NumVgprs: 9
; ScratchSize: 0
; MemoryBound: 0
; FloatMode: 240
; IeeeMode: 1
; LDSByteSize: 0 bytes/workgroup (compile time only)
; SGPRBlocks: 0
; VGPRBlocks: 0
; NumSGPRsForWavesPerEU: 4
; NumVGPRsForWavesPerEU: 9
; NamedBarCnt: 0
; Occupancy: 16
; WaveLimiterHint : 0
; COMPUTE_PGM_RSRC2:SCRATCH_EN: 0
; COMPUTE_PGM_RSRC2:USER_SGPR: 2
; COMPUTE_PGM_RSRC2:TRAP_HANDLER: 0
; COMPUTE_PGM_RSRC2:TGID_X_EN: 1
; COMPUTE_PGM_RSRC2:TGID_Y_EN: 0
; COMPUTE_PGM_RSRC2:TGID_Z_EN: 0
; COMPUTE_PGM_RSRC2:TIDIG_COMP_CNT: 0
	.section	.text._Z17warp_store_kernelILj1024ELj4ELj16ELN6hipcub18WarpStoreAlgorithmE0EiEvPT3_S3_,"axG",@progbits,_Z17warp_store_kernelILj1024ELj4ELj16ELN6hipcub18WarpStoreAlgorithmE0EiEvPT3_S3_,comdat
	.protected	_Z17warp_store_kernelILj1024ELj4ELj16ELN6hipcub18WarpStoreAlgorithmE0EiEvPT3_S3_ ; -- Begin function _Z17warp_store_kernelILj1024ELj4ELj16ELN6hipcub18WarpStoreAlgorithmE0EiEvPT3_S3_
	.globl	_Z17warp_store_kernelILj1024ELj4ELj16ELN6hipcub18WarpStoreAlgorithmE0EiEvPT3_S3_
	.p2align	8
	.type	_Z17warp_store_kernelILj1024ELj4ELj16ELN6hipcub18WarpStoreAlgorithmE0EiEvPT3_S3_,@function
_Z17warp_store_kernelILj1024ELj4ELj16ELN6hipcub18WarpStoreAlgorithmE0EiEvPT3_S3_: ; @_Z17warp_store_kernelILj1024ELj4ELj16ELN6hipcub18WarpStoreAlgorithmE0EiEvPT3_S3_
; %bb.0:
	s_load_b128 s[0:3], s[0:1], 0x0
	v_mbcnt_lo_u32_b32 v6, -1, 0
	s_delay_alu instid0(VALU_DEP_1) | instskip(SKIP_4) | instid1(VALU_DEP_1)
	v_dual_mov_b32 v1, 0 :: v_dual_lshlrev_b32 v8, 4, v6
	s_wait_kmcnt 0x0
	global_load_b128 v[2:5], v0, s[0:1] scale_offset
	s_wait_xcnt 0x0
	v_lshlrev_b32_e32 v0, 4, v0
	v_and_b32_e32 v0, 0x3f00, v0
	s_delay_alu instid0(VALU_DEP_1) | instskip(SKIP_1) | instid1(VALU_DEP_1)
	v_add_nc_u64_e32 v[6:7], s[2:3], v[0:1]
	v_and_b32_e32 v0, 0xf0, v8
	v_add_nc_u64_e32 v[0:1], v[6:7], v[0:1]
	s_wait_loadcnt 0x0
	global_store_b128 v[0:1], v[2:5], off
	s_endpgm
	.section	.rodata,"a",@progbits
	.p2align	6, 0x0
	.amdhsa_kernel _Z17warp_store_kernelILj1024ELj4ELj16ELN6hipcub18WarpStoreAlgorithmE0EiEvPT3_S3_
		.amdhsa_group_segment_fixed_size 0
		.amdhsa_private_segment_fixed_size 0
		.amdhsa_kernarg_size 16
		.amdhsa_user_sgpr_count 2
		.amdhsa_user_sgpr_dispatch_ptr 0
		.amdhsa_user_sgpr_queue_ptr 0
		.amdhsa_user_sgpr_kernarg_segment_ptr 1
		.amdhsa_user_sgpr_dispatch_id 0
		.amdhsa_user_sgpr_kernarg_preload_length 0
		.amdhsa_user_sgpr_kernarg_preload_offset 0
		.amdhsa_user_sgpr_private_segment_size 0
		.amdhsa_wavefront_size32 1
		.amdhsa_uses_dynamic_stack 0
		.amdhsa_enable_private_segment 0
		.amdhsa_system_sgpr_workgroup_id_x 1
		.amdhsa_system_sgpr_workgroup_id_y 0
		.amdhsa_system_sgpr_workgroup_id_z 0
		.amdhsa_system_sgpr_workgroup_info 0
		.amdhsa_system_vgpr_workitem_id 0
		.amdhsa_next_free_vgpr 9
		.amdhsa_next_free_sgpr 4
		.amdhsa_named_barrier_count 0
		.amdhsa_reserve_vcc 0
		.amdhsa_float_round_mode_32 0
		.amdhsa_float_round_mode_16_64 0
		.amdhsa_float_denorm_mode_32 3
		.amdhsa_float_denorm_mode_16_64 3
		.amdhsa_fp16_overflow 0
		.amdhsa_memory_ordered 1
		.amdhsa_forward_progress 1
		.amdhsa_inst_pref_size 1
		.amdhsa_round_robin_scheduling 0
		.amdhsa_exception_fp_ieee_invalid_op 0
		.amdhsa_exception_fp_denorm_src 0
		.amdhsa_exception_fp_ieee_div_zero 0
		.amdhsa_exception_fp_ieee_overflow 0
		.amdhsa_exception_fp_ieee_underflow 0
		.amdhsa_exception_fp_ieee_inexact 0
		.amdhsa_exception_int_div_zero 0
	.end_amdhsa_kernel
	.section	.text._Z17warp_store_kernelILj1024ELj4ELj16ELN6hipcub18WarpStoreAlgorithmE0EiEvPT3_S3_,"axG",@progbits,_Z17warp_store_kernelILj1024ELj4ELj16ELN6hipcub18WarpStoreAlgorithmE0EiEvPT3_S3_,comdat
.Lfunc_end11:
	.size	_Z17warp_store_kernelILj1024ELj4ELj16ELN6hipcub18WarpStoreAlgorithmE0EiEvPT3_S3_, .Lfunc_end11-_Z17warp_store_kernelILj1024ELj4ELj16ELN6hipcub18WarpStoreAlgorithmE0EiEvPT3_S3_
                                        ; -- End function
	.set _Z17warp_store_kernelILj1024ELj4ELj16ELN6hipcub18WarpStoreAlgorithmE0EiEvPT3_S3_.num_vgpr, 9
	.set _Z17warp_store_kernelILj1024ELj4ELj16ELN6hipcub18WarpStoreAlgorithmE0EiEvPT3_S3_.num_agpr, 0
	.set _Z17warp_store_kernelILj1024ELj4ELj16ELN6hipcub18WarpStoreAlgorithmE0EiEvPT3_S3_.numbered_sgpr, 4
	.set _Z17warp_store_kernelILj1024ELj4ELj16ELN6hipcub18WarpStoreAlgorithmE0EiEvPT3_S3_.num_named_barrier, 0
	.set _Z17warp_store_kernelILj1024ELj4ELj16ELN6hipcub18WarpStoreAlgorithmE0EiEvPT3_S3_.private_seg_size, 0
	.set _Z17warp_store_kernelILj1024ELj4ELj16ELN6hipcub18WarpStoreAlgorithmE0EiEvPT3_S3_.uses_vcc, 0
	.set _Z17warp_store_kernelILj1024ELj4ELj16ELN6hipcub18WarpStoreAlgorithmE0EiEvPT3_S3_.uses_flat_scratch, 0
	.set _Z17warp_store_kernelILj1024ELj4ELj16ELN6hipcub18WarpStoreAlgorithmE0EiEvPT3_S3_.has_dyn_sized_stack, 0
	.set _Z17warp_store_kernelILj1024ELj4ELj16ELN6hipcub18WarpStoreAlgorithmE0EiEvPT3_S3_.has_recursion, 0
	.set _Z17warp_store_kernelILj1024ELj4ELj16ELN6hipcub18WarpStoreAlgorithmE0EiEvPT3_S3_.has_indirect_call, 0
	.section	.AMDGPU.csdata,"",@progbits
; Kernel info:
; codeLenInByte = 100
; TotalNumSgprs: 4
; NumVgprs: 9
; ScratchSize: 0
; MemoryBound: 0
; FloatMode: 240
; IeeeMode: 1
; LDSByteSize: 0 bytes/workgroup (compile time only)
; SGPRBlocks: 0
; VGPRBlocks: 0
; NumSGPRsForWavesPerEU: 4
; NumVGPRsForWavesPerEU: 9
; NamedBarCnt: 0
; Occupancy: 16
; WaveLimiterHint : 0
; COMPUTE_PGM_RSRC2:SCRATCH_EN: 0
; COMPUTE_PGM_RSRC2:USER_SGPR: 2
; COMPUTE_PGM_RSRC2:TRAP_HANDLER: 0
; COMPUTE_PGM_RSRC2:TGID_X_EN: 1
; COMPUTE_PGM_RSRC2:TGID_Y_EN: 0
; COMPUTE_PGM_RSRC2:TGID_Z_EN: 0
; COMPUTE_PGM_RSRC2:TIDIG_COMP_CNT: 0
	.section	.text._Z17warp_store_kernelILj1024ELj4ELj1ELN6hipcub18WarpStoreAlgorithmE3EiEvPT3_S3_,"axG",@progbits,_Z17warp_store_kernelILj1024ELj4ELj1ELN6hipcub18WarpStoreAlgorithmE3EiEvPT3_S3_,comdat
	.protected	_Z17warp_store_kernelILj1024ELj4ELj1ELN6hipcub18WarpStoreAlgorithmE3EiEvPT3_S3_ ; -- Begin function _Z17warp_store_kernelILj1024ELj4ELj1ELN6hipcub18WarpStoreAlgorithmE3EiEvPT3_S3_
	.globl	_Z17warp_store_kernelILj1024ELj4ELj1ELN6hipcub18WarpStoreAlgorithmE3EiEvPT3_S3_
	.p2align	8
	.type	_Z17warp_store_kernelILj1024ELj4ELj1ELN6hipcub18WarpStoreAlgorithmE3EiEvPT3_S3_,@function
_Z17warp_store_kernelILj1024ELj4ELj1ELN6hipcub18WarpStoreAlgorithmE3EiEvPT3_S3_: ; @_Z17warp_store_kernelILj1024ELj4ELj1ELN6hipcub18WarpStoreAlgorithmE3EiEvPT3_S3_
; %bb.0:
	s_load_b128 s[0:3], s[0:1], 0x0
	v_lshlrev_b32_e32 v1, 4, v0
	s_wait_kmcnt 0x0
	global_load_b128 v[2:5], v0, s[0:1] scale_offset
	s_wait_loadcnt 0x0
	ds_store_b128 v1, v[2:5]
	; wave barrier
	ds_load_b128 v[2:5], v1
	s_wait_dscnt 0x0
	global_store_b128 v0, v[2:5], s[2:3] scale_offset
	s_endpgm
	.section	.rodata,"a",@progbits
	.p2align	6, 0x0
	.amdhsa_kernel _Z17warp_store_kernelILj1024ELj4ELj1ELN6hipcub18WarpStoreAlgorithmE3EiEvPT3_S3_
		.amdhsa_group_segment_fixed_size 16384
		.amdhsa_private_segment_fixed_size 0
		.amdhsa_kernarg_size 16
		.amdhsa_user_sgpr_count 2
		.amdhsa_user_sgpr_dispatch_ptr 0
		.amdhsa_user_sgpr_queue_ptr 0
		.amdhsa_user_sgpr_kernarg_segment_ptr 1
		.amdhsa_user_sgpr_dispatch_id 0
		.amdhsa_user_sgpr_kernarg_preload_length 0
		.amdhsa_user_sgpr_kernarg_preload_offset 0
		.amdhsa_user_sgpr_private_segment_size 0
		.amdhsa_wavefront_size32 1
		.amdhsa_uses_dynamic_stack 0
		.amdhsa_enable_private_segment 0
		.amdhsa_system_sgpr_workgroup_id_x 1
		.amdhsa_system_sgpr_workgroup_id_y 0
		.amdhsa_system_sgpr_workgroup_id_z 0
		.amdhsa_system_sgpr_workgroup_info 0
		.amdhsa_system_vgpr_workitem_id 0
		.amdhsa_next_free_vgpr 6
		.amdhsa_next_free_sgpr 4
		.amdhsa_named_barrier_count 0
		.amdhsa_reserve_vcc 0
		.amdhsa_float_round_mode_32 0
		.amdhsa_float_round_mode_16_64 0
		.amdhsa_float_denorm_mode_32 3
		.amdhsa_float_denorm_mode_16_64 3
		.amdhsa_fp16_overflow 0
		.amdhsa_memory_ordered 1
		.amdhsa_forward_progress 1
		.amdhsa_inst_pref_size 1
		.amdhsa_round_robin_scheduling 0
		.amdhsa_exception_fp_ieee_invalid_op 0
		.amdhsa_exception_fp_denorm_src 0
		.amdhsa_exception_fp_ieee_div_zero 0
		.amdhsa_exception_fp_ieee_overflow 0
		.amdhsa_exception_fp_ieee_underflow 0
		.amdhsa_exception_fp_ieee_inexact 0
		.amdhsa_exception_int_div_zero 0
	.end_amdhsa_kernel
	.section	.text._Z17warp_store_kernelILj1024ELj4ELj1ELN6hipcub18WarpStoreAlgorithmE3EiEvPT3_S3_,"axG",@progbits,_Z17warp_store_kernelILj1024ELj4ELj1ELN6hipcub18WarpStoreAlgorithmE3EiEvPT3_S3_,comdat
.Lfunc_end12:
	.size	_Z17warp_store_kernelILj1024ELj4ELj1ELN6hipcub18WarpStoreAlgorithmE3EiEvPT3_S3_, .Lfunc_end12-_Z17warp_store_kernelILj1024ELj4ELj1ELN6hipcub18WarpStoreAlgorithmE3EiEvPT3_S3_
                                        ; -- End function
	.set _Z17warp_store_kernelILj1024ELj4ELj1ELN6hipcub18WarpStoreAlgorithmE3EiEvPT3_S3_.num_vgpr, 6
	.set _Z17warp_store_kernelILj1024ELj4ELj1ELN6hipcub18WarpStoreAlgorithmE3EiEvPT3_S3_.num_agpr, 0
	.set _Z17warp_store_kernelILj1024ELj4ELj1ELN6hipcub18WarpStoreAlgorithmE3EiEvPT3_S3_.numbered_sgpr, 4
	.set _Z17warp_store_kernelILj1024ELj4ELj1ELN6hipcub18WarpStoreAlgorithmE3EiEvPT3_S3_.num_named_barrier, 0
	.set _Z17warp_store_kernelILj1024ELj4ELj1ELN6hipcub18WarpStoreAlgorithmE3EiEvPT3_S3_.private_seg_size, 0
	.set _Z17warp_store_kernelILj1024ELj4ELj1ELN6hipcub18WarpStoreAlgorithmE3EiEvPT3_S3_.uses_vcc, 0
	.set _Z17warp_store_kernelILj1024ELj4ELj1ELN6hipcub18WarpStoreAlgorithmE3EiEvPT3_S3_.uses_flat_scratch, 0
	.set _Z17warp_store_kernelILj1024ELj4ELj1ELN6hipcub18WarpStoreAlgorithmE3EiEvPT3_S3_.has_dyn_sized_stack, 0
	.set _Z17warp_store_kernelILj1024ELj4ELj1ELN6hipcub18WarpStoreAlgorithmE3EiEvPT3_S3_.has_recursion, 0
	.set _Z17warp_store_kernelILj1024ELj4ELj1ELN6hipcub18WarpStoreAlgorithmE3EiEvPT3_S3_.has_indirect_call, 0
	.section	.AMDGPU.csdata,"",@progbits
; Kernel info:
; codeLenInByte = 68
; TotalNumSgprs: 4
; NumVgprs: 6
; ScratchSize: 0
; MemoryBound: 0
; FloatMode: 240
; IeeeMode: 1
; LDSByteSize: 16384 bytes/workgroup (compile time only)
; SGPRBlocks: 0
; VGPRBlocks: 0
; NumSGPRsForWavesPerEU: 4
; NumVGPRsForWavesPerEU: 6
; NamedBarCnt: 0
; Occupancy: 16
; WaveLimiterHint : 0
; COMPUTE_PGM_RSRC2:SCRATCH_EN: 0
; COMPUTE_PGM_RSRC2:USER_SGPR: 2
; COMPUTE_PGM_RSRC2:TRAP_HANDLER: 0
; COMPUTE_PGM_RSRC2:TGID_X_EN: 1
; COMPUTE_PGM_RSRC2:TGID_Y_EN: 0
; COMPUTE_PGM_RSRC2:TGID_Z_EN: 0
; COMPUTE_PGM_RSRC2:TIDIG_COMP_CNT: 0
	.section	.text._Z17warp_store_kernelILj1024ELj4ELj1ELN6hipcub18WarpStoreAlgorithmE2EiEvPT3_S3_,"axG",@progbits,_Z17warp_store_kernelILj1024ELj4ELj1ELN6hipcub18WarpStoreAlgorithmE2EiEvPT3_S3_,comdat
	.protected	_Z17warp_store_kernelILj1024ELj4ELj1ELN6hipcub18WarpStoreAlgorithmE2EiEvPT3_S3_ ; -- Begin function _Z17warp_store_kernelILj1024ELj4ELj1ELN6hipcub18WarpStoreAlgorithmE2EiEvPT3_S3_
	.globl	_Z17warp_store_kernelILj1024ELj4ELj1ELN6hipcub18WarpStoreAlgorithmE2EiEvPT3_S3_
	.p2align	8
	.type	_Z17warp_store_kernelILj1024ELj4ELj1ELN6hipcub18WarpStoreAlgorithmE2EiEvPT3_S3_,@function
_Z17warp_store_kernelILj1024ELj4ELj1ELN6hipcub18WarpStoreAlgorithmE2EiEvPT3_S3_: ; @_Z17warp_store_kernelILj1024ELj4ELj1ELN6hipcub18WarpStoreAlgorithmE2EiEvPT3_S3_
; %bb.0:
	s_load_b128 s[0:3], s[0:1], 0x0
	s_wait_kmcnt 0x0
	global_load_b128 v[2:5], v0, s[0:1] scale_offset
	s_wait_loadcnt 0x0
	global_store_b128 v0, v[2:5], s[2:3] scale_offset
	s_endpgm
	.section	.rodata,"a",@progbits
	.p2align	6, 0x0
	.amdhsa_kernel _Z17warp_store_kernelILj1024ELj4ELj1ELN6hipcub18WarpStoreAlgorithmE2EiEvPT3_S3_
		.amdhsa_group_segment_fixed_size 0
		.amdhsa_private_segment_fixed_size 0
		.amdhsa_kernarg_size 16
		.amdhsa_user_sgpr_count 2
		.amdhsa_user_sgpr_dispatch_ptr 0
		.amdhsa_user_sgpr_queue_ptr 0
		.amdhsa_user_sgpr_kernarg_segment_ptr 1
		.amdhsa_user_sgpr_dispatch_id 0
		.amdhsa_user_sgpr_kernarg_preload_length 0
		.amdhsa_user_sgpr_kernarg_preload_offset 0
		.amdhsa_user_sgpr_private_segment_size 0
		.amdhsa_wavefront_size32 1
		.amdhsa_uses_dynamic_stack 0
		.amdhsa_enable_private_segment 0
		.amdhsa_system_sgpr_workgroup_id_x 1
		.amdhsa_system_sgpr_workgroup_id_y 0
		.amdhsa_system_sgpr_workgroup_id_z 0
		.amdhsa_system_sgpr_workgroup_info 0
		.amdhsa_system_vgpr_workitem_id 0
		.amdhsa_next_free_vgpr 6
		.amdhsa_next_free_sgpr 4
		.amdhsa_named_barrier_count 0
		.amdhsa_reserve_vcc 0
		.amdhsa_float_round_mode_32 0
		.amdhsa_float_round_mode_16_64 0
		.amdhsa_float_denorm_mode_32 3
		.amdhsa_float_denorm_mode_16_64 3
		.amdhsa_fp16_overflow 0
		.amdhsa_memory_ordered 1
		.amdhsa_forward_progress 1
		.amdhsa_inst_pref_size 1
		.amdhsa_round_robin_scheduling 0
		.amdhsa_exception_fp_ieee_invalid_op 0
		.amdhsa_exception_fp_denorm_src 0
		.amdhsa_exception_fp_ieee_div_zero 0
		.amdhsa_exception_fp_ieee_overflow 0
		.amdhsa_exception_fp_ieee_underflow 0
		.amdhsa_exception_fp_ieee_inexact 0
		.amdhsa_exception_int_div_zero 0
	.end_amdhsa_kernel
	.section	.text._Z17warp_store_kernelILj1024ELj4ELj1ELN6hipcub18WarpStoreAlgorithmE2EiEvPT3_S3_,"axG",@progbits,_Z17warp_store_kernelILj1024ELj4ELj1ELN6hipcub18WarpStoreAlgorithmE2EiEvPT3_S3_,comdat
.Lfunc_end13:
	.size	_Z17warp_store_kernelILj1024ELj4ELj1ELN6hipcub18WarpStoreAlgorithmE2EiEvPT3_S3_, .Lfunc_end13-_Z17warp_store_kernelILj1024ELj4ELj1ELN6hipcub18WarpStoreAlgorithmE2EiEvPT3_S3_
                                        ; -- End function
	.set _Z17warp_store_kernelILj1024ELj4ELj1ELN6hipcub18WarpStoreAlgorithmE2EiEvPT3_S3_.num_vgpr, 6
	.set _Z17warp_store_kernelILj1024ELj4ELj1ELN6hipcub18WarpStoreAlgorithmE2EiEvPT3_S3_.num_agpr, 0
	.set _Z17warp_store_kernelILj1024ELj4ELj1ELN6hipcub18WarpStoreAlgorithmE2EiEvPT3_S3_.numbered_sgpr, 4
	.set _Z17warp_store_kernelILj1024ELj4ELj1ELN6hipcub18WarpStoreAlgorithmE2EiEvPT3_S3_.num_named_barrier, 0
	.set _Z17warp_store_kernelILj1024ELj4ELj1ELN6hipcub18WarpStoreAlgorithmE2EiEvPT3_S3_.private_seg_size, 0
	.set _Z17warp_store_kernelILj1024ELj4ELj1ELN6hipcub18WarpStoreAlgorithmE2EiEvPT3_S3_.uses_vcc, 0
	.set _Z17warp_store_kernelILj1024ELj4ELj1ELN6hipcub18WarpStoreAlgorithmE2EiEvPT3_S3_.uses_flat_scratch, 0
	.set _Z17warp_store_kernelILj1024ELj4ELj1ELN6hipcub18WarpStoreAlgorithmE2EiEvPT3_S3_.has_dyn_sized_stack, 0
	.set _Z17warp_store_kernelILj1024ELj4ELj1ELN6hipcub18WarpStoreAlgorithmE2EiEvPT3_S3_.has_recursion, 0
	.set _Z17warp_store_kernelILj1024ELj4ELj1ELN6hipcub18WarpStoreAlgorithmE2EiEvPT3_S3_.has_indirect_call, 0
	.section	.AMDGPU.csdata,"",@progbits
; Kernel info:
; codeLenInByte = 44
; TotalNumSgprs: 4
; NumVgprs: 6
; ScratchSize: 0
; MemoryBound: 0
; FloatMode: 240
; IeeeMode: 1
; LDSByteSize: 0 bytes/workgroup (compile time only)
; SGPRBlocks: 0
; VGPRBlocks: 0
; NumSGPRsForWavesPerEU: 4
; NumVGPRsForWavesPerEU: 6
; NamedBarCnt: 0
; Occupancy: 16
; WaveLimiterHint : 0
; COMPUTE_PGM_RSRC2:SCRATCH_EN: 0
; COMPUTE_PGM_RSRC2:USER_SGPR: 2
; COMPUTE_PGM_RSRC2:TRAP_HANDLER: 0
; COMPUTE_PGM_RSRC2:TGID_X_EN: 1
; COMPUTE_PGM_RSRC2:TGID_Y_EN: 0
; COMPUTE_PGM_RSRC2:TGID_Z_EN: 0
; COMPUTE_PGM_RSRC2:TIDIG_COMP_CNT: 0
	.section	.text._Z17warp_store_kernelILj1024ELj4ELj1ELN6hipcub18WarpStoreAlgorithmE1EiEvPT3_S3_,"axG",@progbits,_Z17warp_store_kernelILj1024ELj4ELj1ELN6hipcub18WarpStoreAlgorithmE1EiEvPT3_S3_,comdat
	.protected	_Z17warp_store_kernelILj1024ELj4ELj1ELN6hipcub18WarpStoreAlgorithmE1EiEvPT3_S3_ ; -- Begin function _Z17warp_store_kernelILj1024ELj4ELj1ELN6hipcub18WarpStoreAlgorithmE1EiEvPT3_S3_
	.globl	_Z17warp_store_kernelILj1024ELj4ELj1ELN6hipcub18WarpStoreAlgorithmE1EiEvPT3_S3_
	.p2align	8
	.type	_Z17warp_store_kernelILj1024ELj4ELj1ELN6hipcub18WarpStoreAlgorithmE1EiEvPT3_S3_,@function
_Z17warp_store_kernelILj1024ELj4ELj1ELN6hipcub18WarpStoreAlgorithmE1EiEvPT3_S3_: ; @_Z17warp_store_kernelILj1024ELj4ELj1ELN6hipcub18WarpStoreAlgorithmE1EiEvPT3_S3_
; %bb.0:
	s_load_b128 s[0:3], s[0:1], 0x0
	s_wait_kmcnt 0x0
	global_load_b128 v[2:5], v0, s[0:1] scale_offset
	s_wait_loadcnt 0x0
	global_store_b128 v0, v[2:5], s[2:3] scale_offset
	s_endpgm
	.section	.rodata,"a",@progbits
	.p2align	6, 0x0
	.amdhsa_kernel _Z17warp_store_kernelILj1024ELj4ELj1ELN6hipcub18WarpStoreAlgorithmE1EiEvPT3_S3_
		.amdhsa_group_segment_fixed_size 0
		.amdhsa_private_segment_fixed_size 0
		.amdhsa_kernarg_size 16
		.amdhsa_user_sgpr_count 2
		.amdhsa_user_sgpr_dispatch_ptr 0
		.amdhsa_user_sgpr_queue_ptr 0
		.amdhsa_user_sgpr_kernarg_segment_ptr 1
		.amdhsa_user_sgpr_dispatch_id 0
		.amdhsa_user_sgpr_kernarg_preload_length 0
		.amdhsa_user_sgpr_kernarg_preload_offset 0
		.amdhsa_user_sgpr_private_segment_size 0
		.amdhsa_wavefront_size32 1
		.amdhsa_uses_dynamic_stack 0
		.amdhsa_enable_private_segment 0
		.amdhsa_system_sgpr_workgroup_id_x 1
		.amdhsa_system_sgpr_workgroup_id_y 0
		.amdhsa_system_sgpr_workgroup_id_z 0
		.amdhsa_system_sgpr_workgroup_info 0
		.amdhsa_system_vgpr_workitem_id 0
		.amdhsa_next_free_vgpr 6
		.amdhsa_next_free_sgpr 4
		.amdhsa_named_barrier_count 0
		.amdhsa_reserve_vcc 0
		.amdhsa_float_round_mode_32 0
		.amdhsa_float_round_mode_16_64 0
		.amdhsa_float_denorm_mode_32 3
		.amdhsa_float_denorm_mode_16_64 3
		.amdhsa_fp16_overflow 0
		.amdhsa_memory_ordered 1
		.amdhsa_forward_progress 1
		.amdhsa_inst_pref_size 1
		.amdhsa_round_robin_scheduling 0
		.amdhsa_exception_fp_ieee_invalid_op 0
		.amdhsa_exception_fp_denorm_src 0
		.amdhsa_exception_fp_ieee_div_zero 0
		.amdhsa_exception_fp_ieee_overflow 0
		.amdhsa_exception_fp_ieee_underflow 0
		.amdhsa_exception_fp_ieee_inexact 0
		.amdhsa_exception_int_div_zero 0
	.end_amdhsa_kernel
	.section	.text._Z17warp_store_kernelILj1024ELj4ELj1ELN6hipcub18WarpStoreAlgorithmE1EiEvPT3_S3_,"axG",@progbits,_Z17warp_store_kernelILj1024ELj4ELj1ELN6hipcub18WarpStoreAlgorithmE1EiEvPT3_S3_,comdat
.Lfunc_end14:
	.size	_Z17warp_store_kernelILj1024ELj4ELj1ELN6hipcub18WarpStoreAlgorithmE1EiEvPT3_S3_, .Lfunc_end14-_Z17warp_store_kernelILj1024ELj4ELj1ELN6hipcub18WarpStoreAlgorithmE1EiEvPT3_S3_
                                        ; -- End function
	.set _Z17warp_store_kernelILj1024ELj4ELj1ELN6hipcub18WarpStoreAlgorithmE1EiEvPT3_S3_.num_vgpr, 6
	.set _Z17warp_store_kernelILj1024ELj4ELj1ELN6hipcub18WarpStoreAlgorithmE1EiEvPT3_S3_.num_agpr, 0
	.set _Z17warp_store_kernelILj1024ELj4ELj1ELN6hipcub18WarpStoreAlgorithmE1EiEvPT3_S3_.numbered_sgpr, 4
	.set _Z17warp_store_kernelILj1024ELj4ELj1ELN6hipcub18WarpStoreAlgorithmE1EiEvPT3_S3_.num_named_barrier, 0
	.set _Z17warp_store_kernelILj1024ELj4ELj1ELN6hipcub18WarpStoreAlgorithmE1EiEvPT3_S3_.private_seg_size, 0
	.set _Z17warp_store_kernelILj1024ELj4ELj1ELN6hipcub18WarpStoreAlgorithmE1EiEvPT3_S3_.uses_vcc, 0
	.set _Z17warp_store_kernelILj1024ELj4ELj1ELN6hipcub18WarpStoreAlgorithmE1EiEvPT3_S3_.uses_flat_scratch, 0
	.set _Z17warp_store_kernelILj1024ELj4ELj1ELN6hipcub18WarpStoreAlgorithmE1EiEvPT3_S3_.has_dyn_sized_stack, 0
	.set _Z17warp_store_kernelILj1024ELj4ELj1ELN6hipcub18WarpStoreAlgorithmE1EiEvPT3_S3_.has_recursion, 0
	.set _Z17warp_store_kernelILj1024ELj4ELj1ELN6hipcub18WarpStoreAlgorithmE1EiEvPT3_S3_.has_indirect_call, 0
	.section	.AMDGPU.csdata,"",@progbits
; Kernel info:
; codeLenInByte = 44
; TotalNumSgprs: 4
; NumVgprs: 6
; ScratchSize: 0
; MemoryBound: 0
; FloatMode: 240
; IeeeMode: 1
; LDSByteSize: 0 bytes/workgroup (compile time only)
; SGPRBlocks: 0
; VGPRBlocks: 0
; NumSGPRsForWavesPerEU: 4
; NumVGPRsForWavesPerEU: 6
; NamedBarCnt: 0
; Occupancy: 16
; WaveLimiterHint : 0
; COMPUTE_PGM_RSRC2:SCRATCH_EN: 0
; COMPUTE_PGM_RSRC2:USER_SGPR: 2
; COMPUTE_PGM_RSRC2:TRAP_HANDLER: 0
; COMPUTE_PGM_RSRC2:TGID_X_EN: 1
; COMPUTE_PGM_RSRC2:TGID_Y_EN: 0
; COMPUTE_PGM_RSRC2:TGID_Z_EN: 0
; COMPUTE_PGM_RSRC2:TIDIG_COMP_CNT: 0
	.section	.text._Z17warp_store_kernelILj1024ELj4ELj1ELN6hipcub18WarpStoreAlgorithmE0EiEvPT3_S3_,"axG",@progbits,_Z17warp_store_kernelILj1024ELj4ELj1ELN6hipcub18WarpStoreAlgorithmE0EiEvPT3_S3_,comdat
	.protected	_Z17warp_store_kernelILj1024ELj4ELj1ELN6hipcub18WarpStoreAlgorithmE0EiEvPT3_S3_ ; -- Begin function _Z17warp_store_kernelILj1024ELj4ELj1ELN6hipcub18WarpStoreAlgorithmE0EiEvPT3_S3_
	.globl	_Z17warp_store_kernelILj1024ELj4ELj1ELN6hipcub18WarpStoreAlgorithmE0EiEvPT3_S3_
	.p2align	8
	.type	_Z17warp_store_kernelILj1024ELj4ELj1ELN6hipcub18WarpStoreAlgorithmE0EiEvPT3_S3_,@function
_Z17warp_store_kernelILj1024ELj4ELj1ELN6hipcub18WarpStoreAlgorithmE0EiEvPT3_S3_: ; @_Z17warp_store_kernelILj1024ELj4ELj1ELN6hipcub18WarpStoreAlgorithmE0EiEvPT3_S3_
; %bb.0:
	s_load_b128 s[0:3], s[0:1], 0x0
	s_wait_kmcnt 0x0
	global_load_b128 v[2:5], v0, s[0:1] scale_offset
	s_wait_loadcnt 0x0
	global_store_b128 v0, v[2:5], s[2:3] scale_offset
	s_endpgm
	.section	.rodata,"a",@progbits
	.p2align	6, 0x0
	.amdhsa_kernel _Z17warp_store_kernelILj1024ELj4ELj1ELN6hipcub18WarpStoreAlgorithmE0EiEvPT3_S3_
		.amdhsa_group_segment_fixed_size 0
		.amdhsa_private_segment_fixed_size 0
		.amdhsa_kernarg_size 16
		.amdhsa_user_sgpr_count 2
		.amdhsa_user_sgpr_dispatch_ptr 0
		.amdhsa_user_sgpr_queue_ptr 0
		.amdhsa_user_sgpr_kernarg_segment_ptr 1
		.amdhsa_user_sgpr_dispatch_id 0
		.amdhsa_user_sgpr_kernarg_preload_length 0
		.amdhsa_user_sgpr_kernarg_preload_offset 0
		.amdhsa_user_sgpr_private_segment_size 0
		.amdhsa_wavefront_size32 1
		.amdhsa_uses_dynamic_stack 0
		.amdhsa_enable_private_segment 0
		.amdhsa_system_sgpr_workgroup_id_x 1
		.amdhsa_system_sgpr_workgroup_id_y 0
		.amdhsa_system_sgpr_workgroup_id_z 0
		.amdhsa_system_sgpr_workgroup_info 0
		.amdhsa_system_vgpr_workitem_id 0
		.amdhsa_next_free_vgpr 6
		.amdhsa_next_free_sgpr 4
		.amdhsa_named_barrier_count 0
		.amdhsa_reserve_vcc 0
		.amdhsa_float_round_mode_32 0
		.amdhsa_float_round_mode_16_64 0
		.amdhsa_float_denorm_mode_32 3
		.amdhsa_float_denorm_mode_16_64 3
		.amdhsa_fp16_overflow 0
		.amdhsa_memory_ordered 1
		.amdhsa_forward_progress 1
		.amdhsa_inst_pref_size 1
		.amdhsa_round_robin_scheduling 0
		.amdhsa_exception_fp_ieee_invalid_op 0
		.amdhsa_exception_fp_denorm_src 0
		.amdhsa_exception_fp_ieee_div_zero 0
		.amdhsa_exception_fp_ieee_overflow 0
		.amdhsa_exception_fp_ieee_underflow 0
		.amdhsa_exception_fp_ieee_inexact 0
		.amdhsa_exception_int_div_zero 0
	.end_amdhsa_kernel
	.section	.text._Z17warp_store_kernelILj1024ELj4ELj1ELN6hipcub18WarpStoreAlgorithmE0EiEvPT3_S3_,"axG",@progbits,_Z17warp_store_kernelILj1024ELj4ELj1ELN6hipcub18WarpStoreAlgorithmE0EiEvPT3_S3_,comdat
.Lfunc_end15:
	.size	_Z17warp_store_kernelILj1024ELj4ELj1ELN6hipcub18WarpStoreAlgorithmE0EiEvPT3_S3_, .Lfunc_end15-_Z17warp_store_kernelILj1024ELj4ELj1ELN6hipcub18WarpStoreAlgorithmE0EiEvPT3_S3_
                                        ; -- End function
	.set _Z17warp_store_kernelILj1024ELj4ELj1ELN6hipcub18WarpStoreAlgorithmE0EiEvPT3_S3_.num_vgpr, 6
	.set _Z17warp_store_kernelILj1024ELj4ELj1ELN6hipcub18WarpStoreAlgorithmE0EiEvPT3_S3_.num_agpr, 0
	.set _Z17warp_store_kernelILj1024ELj4ELj1ELN6hipcub18WarpStoreAlgorithmE0EiEvPT3_S3_.numbered_sgpr, 4
	.set _Z17warp_store_kernelILj1024ELj4ELj1ELN6hipcub18WarpStoreAlgorithmE0EiEvPT3_S3_.num_named_barrier, 0
	.set _Z17warp_store_kernelILj1024ELj4ELj1ELN6hipcub18WarpStoreAlgorithmE0EiEvPT3_S3_.private_seg_size, 0
	.set _Z17warp_store_kernelILj1024ELj4ELj1ELN6hipcub18WarpStoreAlgorithmE0EiEvPT3_S3_.uses_vcc, 0
	.set _Z17warp_store_kernelILj1024ELj4ELj1ELN6hipcub18WarpStoreAlgorithmE0EiEvPT3_S3_.uses_flat_scratch, 0
	.set _Z17warp_store_kernelILj1024ELj4ELj1ELN6hipcub18WarpStoreAlgorithmE0EiEvPT3_S3_.has_dyn_sized_stack, 0
	.set _Z17warp_store_kernelILj1024ELj4ELj1ELN6hipcub18WarpStoreAlgorithmE0EiEvPT3_S3_.has_recursion, 0
	.set _Z17warp_store_kernelILj1024ELj4ELj1ELN6hipcub18WarpStoreAlgorithmE0EiEvPT3_S3_.has_indirect_call, 0
	.section	.AMDGPU.csdata,"",@progbits
; Kernel info:
; codeLenInByte = 44
; TotalNumSgprs: 4
; NumVgprs: 6
; ScratchSize: 0
; MemoryBound: 0
; FloatMode: 240
; IeeeMode: 1
; LDSByteSize: 0 bytes/workgroup (compile time only)
; SGPRBlocks: 0
; VGPRBlocks: 0
; NumSGPRsForWavesPerEU: 4
; NumVGPRsForWavesPerEU: 6
; NamedBarCnt: 0
; Occupancy: 16
; WaveLimiterHint : 0
; COMPUTE_PGM_RSRC2:SCRATCH_EN: 0
; COMPUTE_PGM_RSRC2:USER_SGPR: 2
; COMPUTE_PGM_RSRC2:TRAP_HANDLER: 0
; COMPUTE_PGM_RSRC2:TGID_X_EN: 1
; COMPUTE_PGM_RSRC2:TGID_Y_EN: 0
; COMPUTE_PGM_RSRC2:TGID_Z_EN: 0
; COMPUTE_PGM_RSRC2:TIDIG_COMP_CNT: 0
	.section	.text._Z25warp_store_guarded_kernelILj1024ELj4ELj64ELN6hipcub18WarpStoreAlgorithmE3EiEvPT3_S3_i,"axG",@progbits,_Z25warp_store_guarded_kernelILj1024ELj4ELj64ELN6hipcub18WarpStoreAlgorithmE3EiEvPT3_S3_i,comdat
	.protected	_Z25warp_store_guarded_kernelILj1024ELj4ELj64ELN6hipcub18WarpStoreAlgorithmE3EiEvPT3_S3_i ; -- Begin function _Z25warp_store_guarded_kernelILj1024ELj4ELj64ELN6hipcub18WarpStoreAlgorithmE3EiEvPT3_S3_i
	.globl	_Z25warp_store_guarded_kernelILj1024ELj4ELj64ELN6hipcub18WarpStoreAlgorithmE3EiEvPT3_S3_i
	.p2align	8
	.type	_Z25warp_store_guarded_kernelILj1024ELj4ELj64ELN6hipcub18WarpStoreAlgorithmE3EiEvPT3_S3_i,@function
_Z25warp_store_guarded_kernelILj1024ELj4ELj64ELN6hipcub18WarpStoreAlgorithmE3EiEvPT3_S3_i: ; @_Z25warp_store_guarded_kernelILj1024ELj4ELj64ELN6hipcub18WarpStoreAlgorithmE3EiEvPT3_S3_i
; %bb.0:
	s_clause 0x1
	s_load_b128 s[4:7], s[0:1], 0x0
	s_load_b32 s2, s[0:1], 0x10
	v_mbcnt_lo_u32_b32 v4, -1, 0
	s_wait_xcnt 0x0
	s_mov_b32 s0, exec_lo
	s_wait_kmcnt 0x0
	global_load_b128 v[8:11], v0, s[4:5] scale_offset
	s_wait_xcnt 0x0
	v_lshlrev_b32_e32 v0, 4, v0
	s_delay_alu instid0(VALU_DEP_1) | instskip(NEXT) | instid1(VALU_DEP_1)
	v_and_b32_e32 v0, 0x3c00, v0
	v_lshl_or_b32 v1, v4, 4, v0
	s_wait_loadcnt 0x0
	ds_store_b128 v1, v[8:11]
	v_dual_mov_b32 v1, 0 :: v_dual_lshlrev_b32 v12, 2, v4
	; wave barrier
	s_delay_alu instid0(VALU_DEP_1)
	v_dual_mov_b32 v13, v1 :: v_dual_bitop2_b32 v6, v0, v12 bitop3:0x54
	v_add_nc_u64_e32 v[8:9], s[6:7], v[0:1]
	ds_load_2addr_stride64_b32 v[2:3], v6 offset0:1 offset1:2
	ds_load_b32 v5, v6 offset:768
	v_add_nc_u64_e32 v[0:1], v[8:9], v[12:13]
	v_cmpx_gt_u32_e64 s2, v4
	s_cbranch_execz .LBB16_2
; %bb.1:
	ds_load_b32 v6, v6
	s_wait_dscnt 0x0
	global_store_b32 v[0:1], v6, off
.LBB16_2:
	s_wait_xcnt 0x0
	s_or_b32 exec_lo, exec_lo, s0
	v_or_b32_e32 v6, 64, v4
	s_mov_b32 s0, exec_lo
	s_delay_alu instid0(VALU_DEP_1)
	v_cmpx_gt_u32_e64 s2, v6
	s_cbranch_execz .LBB16_4
; %bb.3:
	s_wait_dscnt 0x1
	global_store_b32 v[0:1], v2, off offset:256
.LBB16_4:
	s_wait_xcnt 0x0
	s_or_b32 exec_lo, exec_lo, s0
	s_wait_dscnt 0x1
	v_or_b32_e32 v2, 0x80, v4
	s_mov_b32 s0, exec_lo
	s_delay_alu instid0(VALU_DEP_1)
	v_cmpx_gt_u32_e64 s2, v2
	s_cbranch_execz .LBB16_6
; %bb.5:
	global_store_b32 v[0:1], v3, off offset:512
.LBB16_6:
	s_wait_xcnt 0x0
	s_or_b32 exec_lo, exec_lo, s0
	v_or_b32_e32 v2, 0xc0, v4
	s_mov_b32 s0, exec_lo
	s_delay_alu instid0(VALU_DEP_1)
	v_cmpx_gt_u32_e64 s2, v2
	s_cbranch_execz .LBB16_8
; %bb.7:
	s_wait_dscnt 0x0
	global_store_b32 v[0:1], v5, off offset:768
.LBB16_8:
	s_endpgm
	.section	.rodata,"a",@progbits
	.p2align	6, 0x0
	.amdhsa_kernel _Z25warp_store_guarded_kernelILj1024ELj4ELj64ELN6hipcub18WarpStoreAlgorithmE3EiEvPT3_S3_i
		.amdhsa_group_segment_fixed_size 16384
		.amdhsa_private_segment_fixed_size 0
		.amdhsa_kernarg_size 20
		.amdhsa_user_sgpr_count 2
		.amdhsa_user_sgpr_dispatch_ptr 0
		.amdhsa_user_sgpr_queue_ptr 0
		.amdhsa_user_sgpr_kernarg_segment_ptr 1
		.amdhsa_user_sgpr_dispatch_id 0
		.amdhsa_user_sgpr_kernarg_preload_length 0
		.amdhsa_user_sgpr_kernarg_preload_offset 0
		.amdhsa_user_sgpr_private_segment_size 0
		.amdhsa_wavefront_size32 1
		.amdhsa_uses_dynamic_stack 0
		.amdhsa_enable_private_segment 0
		.amdhsa_system_sgpr_workgroup_id_x 1
		.amdhsa_system_sgpr_workgroup_id_y 0
		.amdhsa_system_sgpr_workgroup_id_z 0
		.amdhsa_system_sgpr_workgroup_info 0
		.amdhsa_system_vgpr_workitem_id 0
		.amdhsa_next_free_vgpr 14
		.amdhsa_next_free_sgpr 8
		.amdhsa_named_barrier_count 0
		.amdhsa_reserve_vcc 0
		.amdhsa_float_round_mode_32 0
		.amdhsa_float_round_mode_16_64 0
		.amdhsa_float_denorm_mode_32 3
		.amdhsa_float_denorm_mode_16_64 3
		.amdhsa_fp16_overflow 0
		.amdhsa_memory_ordered 1
		.amdhsa_forward_progress 1
		.amdhsa_inst_pref_size 3
		.amdhsa_round_robin_scheduling 0
		.amdhsa_exception_fp_ieee_invalid_op 0
		.amdhsa_exception_fp_denorm_src 0
		.amdhsa_exception_fp_ieee_div_zero 0
		.amdhsa_exception_fp_ieee_overflow 0
		.amdhsa_exception_fp_ieee_underflow 0
		.amdhsa_exception_fp_ieee_inexact 0
		.amdhsa_exception_int_div_zero 0
	.end_amdhsa_kernel
	.section	.text._Z25warp_store_guarded_kernelILj1024ELj4ELj64ELN6hipcub18WarpStoreAlgorithmE3EiEvPT3_S3_i,"axG",@progbits,_Z25warp_store_guarded_kernelILj1024ELj4ELj64ELN6hipcub18WarpStoreAlgorithmE3EiEvPT3_S3_i,comdat
.Lfunc_end16:
	.size	_Z25warp_store_guarded_kernelILj1024ELj4ELj64ELN6hipcub18WarpStoreAlgorithmE3EiEvPT3_S3_i, .Lfunc_end16-_Z25warp_store_guarded_kernelILj1024ELj4ELj64ELN6hipcub18WarpStoreAlgorithmE3EiEvPT3_S3_i
                                        ; -- End function
	.set _Z25warp_store_guarded_kernelILj1024ELj4ELj64ELN6hipcub18WarpStoreAlgorithmE3EiEvPT3_S3_i.num_vgpr, 14
	.set _Z25warp_store_guarded_kernelILj1024ELj4ELj64ELN6hipcub18WarpStoreAlgorithmE3EiEvPT3_S3_i.num_agpr, 0
	.set _Z25warp_store_guarded_kernelILj1024ELj4ELj64ELN6hipcub18WarpStoreAlgorithmE3EiEvPT3_S3_i.numbered_sgpr, 8
	.set _Z25warp_store_guarded_kernelILj1024ELj4ELj64ELN6hipcub18WarpStoreAlgorithmE3EiEvPT3_S3_i.num_named_barrier, 0
	.set _Z25warp_store_guarded_kernelILj1024ELj4ELj64ELN6hipcub18WarpStoreAlgorithmE3EiEvPT3_S3_i.private_seg_size, 0
	.set _Z25warp_store_guarded_kernelILj1024ELj4ELj64ELN6hipcub18WarpStoreAlgorithmE3EiEvPT3_S3_i.uses_vcc, 0
	.set _Z25warp_store_guarded_kernelILj1024ELj4ELj64ELN6hipcub18WarpStoreAlgorithmE3EiEvPT3_S3_i.uses_flat_scratch, 0
	.set _Z25warp_store_guarded_kernelILj1024ELj4ELj64ELN6hipcub18WarpStoreAlgorithmE3EiEvPT3_S3_i.has_dyn_sized_stack, 0
	.set _Z25warp_store_guarded_kernelILj1024ELj4ELj64ELN6hipcub18WarpStoreAlgorithmE3EiEvPT3_S3_i.has_recursion, 0
	.set _Z25warp_store_guarded_kernelILj1024ELj4ELj64ELN6hipcub18WarpStoreAlgorithmE3EiEvPT3_S3_i.has_indirect_call, 0
	.section	.AMDGPU.csdata,"",@progbits
; Kernel info:
; codeLenInByte = 332
; TotalNumSgprs: 8
; NumVgprs: 14
; ScratchSize: 0
; MemoryBound: 0
; FloatMode: 240
; IeeeMode: 1
; LDSByteSize: 16384 bytes/workgroup (compile time only)
; SGPRBlocks: 0
; VGPRBlocks: 0
; NumSGPRsForWavesPerEU: 8
; NumVGPRsForWavesPerEU: 14
; NamedBarCnt: 0
; Occupancy: 16
; WaveLimiterHint : 0
; COMPUTE_PGM_RSRC2:SCRATCH_EN: 0
; COMPUTE_PGM_RSRC2:USER_SGPR: 2
; COMPUTE_PGM_RSRC2:TRAP_HANDLER: 0
; COMPUTE_PGM_RSRC2:TGID_X_EN: 1
; COMPUTE_PGM_RSRC2:TGID_Y_EN: 0
; COMPUTE_PGM_RSRC2:TGID_Z_EN: 0
; COMPUTE_PGM_RSRC2:TIDIG_COMP_CNT: 0
	.section	.text._Z25warp_store_guarded_kernelILj1024ELj4ELj64ELN6hipcub18WarpStoreAlgorithmE2EiEvPT3_S3_i,"axG",@progbits,_Z25warp_store_guarded_kernelILj1024ELj4ELj64ELN6hipcub18WarpStoreAlgorithmE2EiEvPT3_S3_i,comdat
	.protected	_Z25warp_store_guarded_kernelILj1024ELj4ELj64ELN6hipcub18WarpStoreAlgorithmE2EiEvPT3_S3_i ; -- Begin function _Z25warp_store_guarded_kernelILj1024ELj4ELj64ELN6hipcub18WarpStoreAlgorithmE2EiEvPT3_S3_i
	.globl	_Z25warp_store_guarded_kernelILj1024ELj4ELj64ELN6hipcub18WarpStoreAlgorithmE2EiEvPT3_S3_i
	.p2align	8
	.type	_Z25warp_store_guarded_kernelILj1024ELj4ELj64ELN6hipcub18WarpStoreAlgorithmE2EiEvPT3_S3_i,@function
_Z25warp_store_guarded_kernelILj1024ELj4ELj64ELN6hipcub18WarpStoreAlgorithmE2EiEvPT3_S3_i: ; @_Z25warp_store_guarded_kernelILj1024ELj4ELj64ELN6hipcub18WarpStoreAlgorithmE2EiEvPT3_S3_i
; %bb.0:
	s_load_b128 s[4:7], s[0:1], 0x0
	v_dual_mov_b32 v9, 0 :: v_dual_lshlrev_b32 v6, 4, v0
	s_wait_xcnt 0x0
	s_load_b32 s0, s[0:1], 0x10
	v_mbcnt_lo_u32_b32 v3, -1, 0
	s_wait_xcnt 0x0
	s_mov_b32 s1, exec_lo
	v_and_b32_e32 v8, 0x3c00, v6
	s_wait_kmcnt 0x0
	global_load_b96 v[0:2], v6, s[4:5] offset:4
	v_add_nc_u64_e32 v[4:5], s[6:7], v[8:9]
	v_dual_lshlrev_b32 v8, 4, v3 :: v_dual_lshlrev_b32 v3, 2, v3
	s_delay_alu instid0(VALU_DEP_1) | instskip(SKIP_1) | instid1(VALU_DEP_2)
	v_add_nc_u64_e32 v[4:5], v[4:5], v[8:9]
	s_wait_xcnt 0x0
	v_cmpx_gt_u32_e64 s0, v3
	s_cbranch_execz .LBB17_2
; %bb.1:
	v_mov_b32_e32 v7, v9
	s_delay_alu instid0(VALU_DEP_1)
	v_add_nc_u64_e32 v[6:7], s[4:5], v[6:7]
	global_load_b32 v6, v[6:7], off
	s_wait_loadcnt 0x0
	global_store_b32 v[4:5], v6, off
.LBB17_2:
	s_wait_xcnt 0x0
	s_or_b32 exec_lo, exec_lo, s1
	v_or_b32_e32 v6, 1, v3
	s_mov_b32 s1, exec_lo
	s_delay_alu instid0(VALU_DEP_1)
	v_cmpx_gt_u32_e64 s0, v6
	s_cbranch_execz .LBB17_4
; %bb.3:
	s_wait_loadcnt 0x0
	global_store_b32 v[4:5], v0, off offset:4
.LBB17_4:
	s_wait_xcnt 0x0
	s_or_b32 exec_lo, exec_lo, s1
	s_wait_loadcnt 0x0
	v_or_b32_e32 v0, 2, v3
	s_mov_b32 s1, exec_lo
	s_delay_alu instid0(VALU_DEP_1)
	v_cmpx_gt_u32_e64 s0, v0
	s_cbranch_execz .LBB17_6
; %bb.5:
	global_store_b32 v[4:5], v1, off offset:8
.LBB17_6:
	s_wait_xcnt 0x0
	s_or_b32 exec_lo, exec_lo, s1
	v_or_b32_e32 v0, 3, v3
	s_delay_alu instid0(VALU_DEP_1)
	v_cmp_gt_u32_e32 vcc_lo, s0, v0
	s_and_saveexec_b32 s0, vcc_lo
	s_cbranch_execz .LBB17_8
; %bb.7:
	global_store_b32 v[4:5], v2, off offset:12
.LBB17_8:
	s_endpgm
	.section	.rodata,"a",@progbits
	.p2align	6, 0x0
	.amdhsa_kernel _Z25warp_store_guarded_kernelILj1024ELj4ELj64ELN6hipcub18WarpStoreAlgorithmE2EiEvPT3_S3_i
		.amdhsa_group_segment_fixed_size 0
		.amdhsa_private_segment_fixed_size 0
		.amdhsa_kernarg_size 20
		.amdhsa_user_sgpr_count 2
		.amdhsa_user_sgpr_dispatch_ptr 0
		.amdhsa_user_sgpr_queue_ptr 0
		.amdhsa_user_sgpr_kernarg_segment_ptr 1
		.amdhsa_user_sgpr_dispatch_id 0
		.amdhsa_user_sgpr_kernarg_preload_length 0
		.amdhsa_user_sgpr_kernarg_preload_offset 0
		.amdhsa_user_sgpr_private_segment_size 0
		.amdhsa_wavefront_size32 1
		.amdhsa_uses_dynamic_stack 0
		.amdhsa_enable_private_segment 0
		.amdhsa_system_sgpr_workgroup_id_x 1
		.amdhsa_system_sgpr_workgroup_id_y 0
		.amdhsa_system_sgpr_workgroup_id_z 0
		.amdhsa_system_sgpr_workgroup_info 0
		.amdhsa_system_vgpr_workitem_id 0
		.amdhsa_next_free_vgpr 10
		.amdhsa_next_free_sgpr 8
		.amdhsa_named_barrier_count 0
		.amdhsa_reserve_vcc 1
		.amdhsa_float_round_mode_32 0
		.amdhsa_float_round_mode_16_64 0
		.amdhsa_float_denorm_mode_32 3
		.amdhsa_float_denorm_mode_16_64 3
		.amdhsa_fp16_overflow 0
		.amdhsa_memory_ordered 1
		.amdhsa_forward_progress 1
		.amdhsa_inst_pref_size 3
		.amdhsa_round_robin_scheduling 0
		.amdhsa_exception_fp_ieee_invalid_op 0
		.amdhsa_exception_fp_denorm_src 0
		.amdhsa_exception_fp_ieee_div_zero 0
		.amdhsa_exception_fp_ieee_overflow 0
		.amdhsa_exception_fp_ieee_underflow 0
		.amdhsa_exception_fp_ieee_inexact 0
		.amdhsa_exception_int_div_zero 0
	.end_amdhsa_kernel
	.section	.text._Z25warp_store_guarded_kernelILj1024ELj4ELj64ELN6hipcub18WarpStoreAlgorithmE2EiEvPT3_S3_i,"axG",@progbits,_Z25warp_store_guarded_kernelILj1024ELj4ELj64ELN6hipcub18WarpStoreAlgorithmE2EiEvPT3_S3_i,comdat
.Lfunc_end17:
	.size	_Z25warp_store_guarded_kernelILj1024ELj4ELj64ELN6hipcub18WarpStoreAlgorithmE2EiEvPT3_S3_i, .Lfunc_end17-_Z25warp_store_guarded_kernelILj1024ELj4ELj64ELN6hipcub18WarpStoreAlgorithmE2EiEvPT3_S3_i
                                        ; -- End function
	.set _Z25warp_store_guarded_kernelILj1024ELj4ELj64ELN6hipcub18WarpStoreAlgorithmE2EiEvPT3_S3_i.num_vgpr, 10
	.set _Z25warp_store_guarded_kernelILj1024ELj4ELj64ELN6hipcub18WarpStoreAlgorithmE2EiEvPT3_S3_i.num_agpr, 0
	.set _Z25warp_store_guarded_kernelILj1024ELj4ELj64ELN6hipcub18WarpStoreAlgorithmE2EiEvPT3_S3_i.numbered_sgpr, 8
	.set _Z25warp_store_guarded_kernelILj1024ELj4ELj64ELN6hipcub18WarpStoreAlgorithmE2EiEvPT3_S3_i.num_named_barrier, 0
	.set _Z25warp_store_guarded_kernelILj1024ELj4ELj64ELN6hipcub18WarpStoreAlgorithmE2EiEvPT3_S3_i.private_seg_size, 0
	.set _Z25warp_store_guarded_kernelILj1024ELj4ELj64ELN6hipcub18WarpStoreAlgorithmE2EiEvPT3_S3_i.uses_vcc, 1
	.set _Z25warp_store_guarded_kernelILj1024ELj4ELj64ELN6hipcub18WarpStoreAlgorithmE2EiEvPT3_S3_i.uses_flat_scratch, 0
	.set _Z25warp_store_guarded_kernelILj1024ELj4ELj64ELN6hipcub18WarpStoreAlgorithmE2EiEvPT3_S3_i.has_dyn_sized_stack, 0
	.set _Z25warp_store_guarded_kernelILj1024ELj4ELj64ELN6hipcub18WarpStoreAlgorithmE2EiEvPT3_S3_i.has_recursion, 0
	.set _Z25warp_store_guarded_kernelILj1024ELj4ELj64ELN6hipcub18WarpStoreAlgorithmE2EiEvPT3_S3_i.has_indirect_call, 0
	.section	.AMDGPU.csdata,"",@progbits
; Kernel info:
; codeLenInByte = 288
; TotalNumSgprs: 10
; NumVgprs: 10
; ScratchSize: 0
; MemoryBound: 0
; FloatMode: 240
; IeeeMode: 1
; LDSByteSize: 0 bytes/workgroup (compile time only)
; SGPRBlocks: 0
; VGPRBlocks: 0
; NumSGPRsForWavesPerEU: 10
; NumVGPRsForWavesPerEU: 10
; NamedBarCnt: 0
; Occupancy: 16
; WaveLimiterHint : 0
; COMPUTE_PGM_RSRC2:SCRATCH_EN: 0
; COMPUTE_PGM_RSRC2:USER_SGPR: 2
; COMPUTE_PGM_RSRC2:TRAP_HANDLER: 0
; COMPUTE_PGM_RSRC2:TGID_X_EN: 1
; COMPUTE_PGM_RSRC2:TGID_Y_EN: 0
; COMPUTE_PGM_RSRC2:TGID_Z_EN: 0
; COMPUTE_PGM_RSRC2:TIDIG_COMP_CNT: 0
	.section	.text._Z25warp_store_guarded_kernelILj1024ELj4ELj64ELN6hipcub18WarpStoreAlgorithmE1EiEvPT3_S3_i,"axG",@progbits,_Z25warp_store_guarded_kernelILj1024ELj4ELj64ELN6hipcub18WarpStoreAlgorithmE1EiEvPT3_S3_i,comdat
	.protected	_Z25warp_store_guarded_kernelILj1024ELj4ELj64ELN6hipcub18WarpStoreAlgorithmE1EiEvPT3_S3_i ; -- Begin function _Z25warp_store_guarded_kernelILj1024ELj4ELj64ELN6hipcub18WarpStoreAlgorithmE1EiEvPT3_S3_i
	.globl	_Z25warp_store_guarded_kernelILj1024ELj4ELj64ELN6hipcub18WarpStoreAlgorithmE1EiEvPT3_S3_i
	.p2align	8
	.type	_Z25warp_store_guarded_kernelILj1024ELj4ELj64ELN6hipcub18WarpStoreAlgorithmE1EiEvPT3_S3_i,@function
_Z25warp_store_guarded_kernelILj1024ELj4ELj64ELN6hipcub18WarpStoreAlgorithmE1EiEvPT3_S3_i: ; @_Z25warp_store_guarded_kernelILj1024ELj4ELj64ELN6hipcub18WarpStoreAlgorithmE1EiEvPT3_S3_i
; %bb.0:
	s_load_b128 s[4:7], s[0:1], 0x0
	v_dual_mov_b32 v9, 0 :: v_dual_lshlrev_b32 v6, 4, v0
	s_wait_xcnt 0x0
	s_load_b32 s0, s[0:1], 0x10
	v_mbcnt_lo_u32_b32 v3, -1, 0
	s_wait_xcnt 0x0
	s_mov_b32 s1, exec_lo
	v_and_b32_e32 v8, 0x3c00, v6
	s_wait_kmcnt 0x0
	global_load_b96 v[0:2], v6, s[4:5] offset:4
	v_add_nc_u64_e32 v[4:5], s[6:7], v[8:9]
	v_lshlrev_b32_e32 v8, 2, v3
	s_delay_alu instid0(VALU_DEP_1)
	v_add_nc_u64_e32 v[4:5], v[4:5], v[8:9]
	s_wait_xcnt 0x0
	v_cmpx_gt_u32_e64 s0, v3
	s_cbranch_execz .LBB18_2
; %bb.1:
	v_mov_b32_e32 v7, v9
	s_delay_alu instid0(VALU_DEP_1)
	v_add_nc_u64_e32 v[6:7], s[4:5], v[6:7]
	global_load_b32 v6, v[6:7], off
	s_wait_loadcnt 0x0
	global_store_b32 v[4:5], v6, off
.LBB18_2:
	s_wait_xcnt 0x0
	s_or_b32 exec_lo, exec_lo, s1
	v_or_b32_e32 v6, 64, v3
	s_mov_b32 s1, exec_lo
	s_delay_alu instid0(VALU_DEP_1)
	v_cmpx_gt_u32_e64 s0, v6
	s_cbranch_execz .LBB18_4
; %bb.3:
	s_wait_loadcnt 0x0
	global_store_b32 v[4:5], v0, off offset:256
.LBB18_4:
	s_wait_xcnt 0x0
	s_or_b32 exec_lo, exec_lo, s1
	s_wait_loadcnt 0x0
	v_or_b32_e32 v0, 0x80, v3
	s_mov_b32 s1, exec_lo
	s_delay_alu instid0(VALU_DEP_1)
	v_cmpx_gt_u32_e64 s0, v0
	s_cbranch_execz .LBB18_6
; %bb.5:
	global_store_b32 v[4:5], v1, off offset:512
.LBB18_6:
	s_wait_xcnt 0x0
	s_or_b32 exec_lo, exec_lo, s1
	v_or_b32_e32 v0, 0xc0, v3
	s_delay_alu instid0(VALU_DEP_1)
	v_cmp_gt_u32_e32 vcc_lo, s0, v0
	s_and_saveexec_b32 s0, vcc_lo
	s_cbranch_execz .LBB18_8
; %bb.7:
	global_store_b32 v[4:5], v2, off offset:768
.LBB18_8:
	s_endpgm
	.section	.rodata,"a",@progbits
	.p2align	6, 0x0
	.amdhsa_kernel _Z25warp_store_guarded_kernelILj1024ELj4ELj64ELN6hipcub18WarpStoreAlgorithmE1EiEvPT3_S3_i
		.amdhsa_group_segment_fixed_size 0
		.amdhsa_private_segment_fixed_size 0
		.amdhsa_kernarg_size 20
		.amdhsa_user_sgpr_count 2
		.amdhsa_user_sgpr_dispatch_ptr 0
		.amdhsa_user_sgpr_queue_ptr 0
		.amdhsa_user_sgpr_kernarg_segment_ptr 1
		.amdhsa_user_sgpr_dispatch_id 0
		.amdhsa_user_sgpr_kernarg_preload_length 0
		.amdhsa_user_sgpr_kernarg_preload_offset 0
		.amdhsa_user_sgpr_private_segment_size 0
		.amdhsa_wavefront_size32 1
		.amdhsa_uses_dynamic_stack 0
		.amdhsa_enable_private_segment 0
		.amdhsa_system_sgpr_workgroup_id_x 1
		.amdhsa_system_sgpr_workgroup_id_y 0
		.amdhsa_system_sgpr_workgroup_id_z 0
		.amdhsa_system_sgpr_workgroup_info 0
		.amdhsa_system_vgpr_workitem_id 0
		.amdhsa_next_free_vgpr 10
		.amdhsa_next_free_sgpr 8
		.amdhsa_named_barrier_count 0
		.amdhsa_reserve_vcc 1
		.amdhsa_float_round_mode_32 0
		.amdhsa_float_round_mode_16_64 0
		.amdhsa_float_denorm_mode_32 3
		.amdhsa_float_denorm_mode_16_64 3
		.amdhsa_fp16_overflow 0
		.amdhsa_memory_ordered 1
		.amdhsa_forward_progress 1
		.amdhsa_inst_pref_size 3
		.amdhsa_round_robin_scheduling 0
		.amdhsa_exception_fp_ieee_invalid_op 0
		.amdhsa_exception_fp_denorm_src 0
		.amdhsa_exception_fp_ieee_div_zero 0
		.amdhsa_exception_fp_ieee_overflow 0
		.amdhsa_exception_fp_ieee_underflow 0
		.amdhsa_exception_fp_ieee_inexact 0
		.amdhsa_exception_int_div_zero 0
	.end_amdhsa_kernel
	.section	.text._Z25warp_store_guarded_kernelILj1024ELj4ELj64ELN6hipcub18WarpStoreAlgorithmE1EiEvPT3_S3_i,"axG",@progbits,_Z25warp_store_guarded_kernelILj1024ELj4ELj64ELN6hipcub18WarpStoreAlgorithmE1EiEvPT3_S3_i,comdat
.Lfunc_end18:
	.size	_Z25warp_store_guarded_kernelILj1024ELj4ELj64ELN6hipcub18WarpStoreAlgorithmE1EiEvPT3_S3_i, .Lfunc_end18-_Z25warp_store_guarded_kernelILj1024ELj4ELj64ELN6hipcub18WarpStoreAlgorithmE1EiEvPT3_S3_i
                                        ; -- End function
	.set _Z25warp_store_guarded_kernelILj1024ELj4ELj64ELN6hipcub18WarpStoreAlgorithmE1EiEvPT3_S3_i.num_vgpr, 10
	.set _Z25warp_store_guarded_kernelILj1024ELj4ELj64ELN6hipcub18WarpStoreAlgorithmE1EiEvPT3_S3_i.num_agpr, 0
	.set _Z25warp_store_guarded_kernelILj1024ELj4ELj64ELN6hipcub18WarpStoreAlgorithmE1EiEvPT3_S3_i.numbered_sgpr, 8
	.set _Z25warp_store_guarded_kernelILj1024ELj4ELj64ELN6hipcub18WarpStoreAlgorithmE1EiEvPT3_S3_i.num_named_barrier, 0
	.set _Z25warp_store_guarded_kernelILj1024ELj4ELj64ELN6hipcub18WarpStoreAlgorithmE1EiEvPT3_S3_i.private_seg_size, 0
	.set _Z25warp_store_guarded_kernelILj1024ELj4ELj64ELN6hipcub18WarpStoreAlgorithmE1EiEvPT3_S3_i.uses_vcc, 1
	.set _Z25warp_store_guarded_kernelILj1024ELj4ELj64ELN6hipcub18WarpStoreAlgorithmE1EiEvPT3_S3_i.uses_flat_scratch, 0
	.set _Z25warp_store_guarded_kernelILj1024ELj4ELj64ELN6hipcub18WarpStoreAlgorithmE1EiEvPT3_S3_i.has_dyn_sized_stack, 0
	.set _Z25warp_store_guarded_kernelILj1024ELj4ELj64ELN6hipcub18WarpStoreAlgorithmE1EiEvPT3_S3_i.has_recursion, 0
	.set _Z25warp_store_guarded_kernelILj1024ELj4ELj64ELN6hipcub18WarpStoreAlgorithmE1EiEvPT3_S3_i.has_indirect_call, 0
	.section	.AMDGPU.csdata,"",@progbits
; Kernel info:
; codeLenInByte = 288
; TotalNumSgprs: 10
; NumVgprs: 10
; ScratchSize: 0
; MemoryBound: 0
; FloatMode: 240
; IeeeMode: 1
; LDSByteSize: 0 bytes/workgroup (compile time only)
; SGPRBlocks: 0
; VGPRBlocks: 0
; NumSGPRsForWavesPerEU: 10
; NumVGPRsForWavesPerEU: 10
; NamedBarCnt: 0
; Occupancy: 16
; WaveLimiterHint : 0
; COMPUTE_PGM_RSRC2:SCRATCH_EN: 0
; COMPUTE_PGM_RSRC2:USER_SGPR: 2
; COMPUTE_PGM_RSRC2:TRAP_HANDLER: 0
; COMPUTE_PGM_RSRC2:TGID_X_EN: 1
; COMPUTE_PGM_RSRC2:TGID_Y_EN: 0
; COMPUTE_PGM_RSRC2:TGID_Z_EN: 0
; COMPUTE_PGM_RSRC2:TIDIG_COMP_CNT: 0
	.section	.text._Z25warp_store_guarded_kernelILj1024ELj4ELj64ELN6hipcub18WarpStoreAlgorithmE0EiEvPT3_S3_i,"axG",@progbits,_Z25warp_store_guarded_kernelILj1024ELj4ELj64ELN6hipcub18WarpStoreAlgorithmE0EiEvPT3_S3_i,comdat
	.protected	_Z25warp_store_guarded_kernelILj1024ELj4ELj64ELN6hipcub18WarpStoreAlgorithmE0EiEvPT3_S3_i ; -- Begin function _Z25warp_store_guarded_kernelILj1024ELj4ELj64ELN6hipcub18WarpStoreAlgorithmE0EiEvPT3_S3_i
	.globl	_Z25warp_store_guarded_kernelILj1024ELj4ELj64ELN6hipcub18WarpStoreAlgorithmE0EiEvPT3_S3_i
	.p2align	8
	.type	_Z25warp_store_guarded_kernelILj1024ELj4ELj64ELN6hipcub18WarpStoreAlgorithmE0EiEvPT3_S3_i,@function
_Z25warp_store_guarded_kernelILj1024ELj4ELj64ELN6hipcub18WarpStoreAlgorithmE0EiEvPT3_S3_i: ; @_Z25warp_store_guarded_kernelILj1024ELj4ELj64ELN6hipcub18WarpStoreAlgorithmE0EiEvPT3_S3_i
; %bb.0:
	s_load_b128 s[4:7], s[0:1], 0x0
	v_dual_mov_b32 v9, 0 :: v_dual_lshlrev_b32 v6, 4, v0
	s_wait_xcnt 0x0
	s_load_b32 s0, s[0:1], 0x10
	v_mbcnt_lo_u32_b32 v3, -1, 0
	s_wait_xcnt 0x0
	s_mov_b32 s1, exec_lo
	v_and_b32_e32 v8, 0x3c00, v6
	s_wait_kmcnt 0x0
	global_load_b96 v[0:2], v6, s[4:5] offset:4
	v_add_nc_u64_e32 v[4:5], s[6:7], v[8:9]
	v_dual_lshlrev_b32 v8, 4, v3 :: v_dual_lshlrev_b32 v3, 2, v3
	s_delay_alu instid0(VALU_DEP_1) | instskip(SKIP_1) | instid1(VALU_DEP_2)
	v_add_nc_u64_e32 v[4:5], v[4:5], v[8:9]
	s_wait_xcnt 0x0
	v_cmpx_gt_u32_e64 s0, v3
	s_cbranch_execz .LBB19_2
; %bb.1:
	v_mov_b32_e32 v7, v9
	s_delay_alu instid0(VALU_DEP_1)
	v_add_nc_u64_e32 v[6:7], s[4:5], v[6:7]
	global_load_b32 v6, v[6:7], off
	s_wait_loadcnt 0x0
	global_store_b32 v[4:5], v6, off
.LBB19_2:
	s_wait_xcnt 0x0
	s_or_b32 exec_lo, exec_lo, s1
	v_or_b32_e32 v6, 1, v3
	s_mov_b32 s1, exec_lo
	s_delay_alu instid0(VALU_DEP_1)
	v_cmpx_gt_u32_e64 s0, v6
	s_cbranch_execz .LBB19_4
; %bb.3:
	s_wait_loadcnt 0x0
	global_store_b32 v[4:5], v0, off offset:4
.LBB19_4:
	s_wait_xcnt 0x0
	s_or_b32 exec_lo, exec_lo, s1
	s_wait_loadcnt 0x0
	v_or_b32_e32 v0, 2, v3
	s_mov_b32 s1, exec_lo
	s_delay_alu instid0(VALU_DEP_1)
	v_cmpx_gt_u32_e64 s0, v0
	s_cbranch_execz .LBB19_6
; %bb.5:
	global_store_b32 v[4:5], v1, off offset:8
.LBB19_6:
	s_wait_xcnt 0x0
	s_or_b32 exec_lo, exec_lo, s1
	v_or_b32_e32 v0, 3, v3
	s_delay_alu instid0(VALU_DEP_1)
	v_cmp_gt_u32_e32 vcc_lo, s0, v0
	s_and_saveexec_b32 s0, vcc_lo
	s_cbranch_execz .LBB19_8
; %bb.7:
	global_store_b32 v[4:5], v2, off offset:12
.LBB19_8:
	s_endpgm
	.section	.rodata,"a",@progbits
	.p2align	6, 0x0
	.amdhsa_kernel _Z25warp_store_guarded_kernelILj1024ELj4ELj64ELN6hipcub18WarpStoreAlgorithmE0EiEvPT3_S3_i
		.amdhsa_group_segment_fixed_size 0
		.amdhsa_private_segment_fixed_size 0
		.amdhsa_kernarg_size 20
		.amdhsa_user_sgpr_count 2
		.amdhsa_user_sgpr_dispatch_ptr 0
		.amdhsa_user_sgpr_queue_ptr 0
		.amdhsa_user_sgpr_kernarg_segment_ptr 1
		.amdhsa_user_sgpr_dispatch_id 0
		.amdhsa_user_sgpr_kernarg_preload_length 0
		.amdhsa_user_sgpr_kernarg_preload_offset 0
		.amdhsa_user_sgpr_private_segment_size 0
		.amdhsa_wavefront_size32 1
		.amdhsa_uses_dynamic_stack 0
		.amdhsa_enable_private_segment 0
		.amdhsa_system_sgpr_workgroup_id_x 1
		.amdhsa_system_sgpr_workgroup_id_y 0
		.amdhsa_system_sgpr_workgroup_id_z 0
		.amdhsa_system_sgpr_workgroup_info 0
		.amdhsa_system_vgpr_workitem_id 0
		.amdhsa_next_free_vgpr 10
		.amdhsa_next_free_sgpr 8
		.amdhsa_named_barrier_count 0
		.amdhsa_reserve_vcc 1
		.amdhsa_float_round_mode_32 0
		.amdhsa_float_round_mode_16_64 0
		.amdhsa_float_denorm_mode_32 3
		.amdhsa_float_denorm_mode_16_64 3
		.amdhsa_fp16_overflow 0
		.amdhsa_memory_ordered 1
		.amdhsa_forward_progress 1
		.amdhsa_inst_pref_size 3
		.amdhsa_round_robin_scheduling 0
		.amdhsa_exception_fp_ieee_invalid_op 0
		.amdhsa_exception_fp_denorm_src 0
		.amdhsa_exception_fp_ieee_div_zero 0
		.amdhsa_exception_fp_ieee_overflow 0
		.amdhsa_exception_fp_ieee_underflow 0
		.amdhsa_exception_fp_ieee_inexact 0
		.amdhsa_exception_int_div_zero 0
	.end_amdhsa_kernel
	.section	.text._Z25warp_store_guarded_kernelILj1024ELj4ELj64ELN6hipcub18WarpStoreAlgorithmE0EiEvPT3_S3_i,"axG",@progbits,_Z25warp_store_guarded_kernelILj1024ELj4ELj64ELN6hipcub18WarpStoreAlgorithmE0EiEvPT3_S3_i,comdat
.Lfunc_end19:
	.size	_Z25warp_store_guarded_kernelILj1024ELj4ELj64ELN6hipcub18WarpStoreAlgorithmE0EiEvPT3_S3_i, .Lfunc_end19-_Z25warp_store_guarded_kernelILj1024ELj4ELj64ELN6hipcub18WarpStoreAlgorithmE0EiEvPT3_S3_i
                                        ; -- End function
	.set _Z25warp_store_guarded_kernelILj1024ELj4ELj64ELN6hipcub18WarpStoreAlgorithmE0EiEvPT3_S3_i.num_vgpr, 10
	.set _Z25warp_store_guarded_kernelILj1024ELj4ELj64ELN6hipcub18WarpStoreAlgorithmE0EiEvPT3_S3_i.num_agpr, 0
	.set _Z25warp_store_guarded_kernelILj1024ELj4ELj64ELN6hipcub18WarpStoreAlgorithmE0EiEvPT3_S3_i.numbered_sgpr, 8
	.set _Z25warp_store_guarded_kernelILj1024ELj4ELj64ELN6hipcub18WarpStoreAlgorithmE0EiEvPT3_S3_i.num_named_barrier, 0
	.set _Z25warp_store_guarded_kernelILj1024ELj4ELj64ELN6hipcub18WarpStoreAlgorithmE0EiEvPT3_S3_i.private_seg_size, 0
	.set _Z25warp_store_guarded_kernelILj1024ELj4ELj64ELN6hipcub18WarpStoreAlgorithmE0EiEvPT3_S3_i.uses_vcc, 1
	.set _Z25warp_store_guarded_kernelILj1024ELj4ELj64ELN6hipcub18WarpStoreAlgorithmE0EiEvPT3_S3_i.uses_flat_scratch, 0
	.set _Z25warp_store_guarded_kernelILj1024ELj4ELj64ELN6hipcub18WarpStoreAlgorithmE0EiEvPT3_S3_i.has_dyn_sized_stack, 0
	.set _Z25warp_store_guarded_kernelILj1024ELj4ELj64ELN6hipcub18WarpStoreAlgorithmE0EiEvPT3_S3_i.has_recursion, 0
	.set _Z25warp_store_guarded_kernelILj1024ELj4ELj64ELN6hipcub18WarpStoreAlgorithmE0EiEvPT3_S3_i.has_indirect_call, 0
	.section	.AMDGPU.csdata,"",@progbits
; Kernel info:
; codeLenInByte = 288
; TotalNumSgprs: 10
; NumVgprs: 10
; ScratchSize: 0
; MemoryBound: 0
; FloatMode: 240
; IeeeMode: 1
; LDSByteSize: 0 bytes/workgroup (compile time only)
; SGPRBlocks: 0
; VGPRBlocks: 0
; NumSGPRsForWavesPerEU: 10
; NumVGPRsForWavesPerEU: 10
; NamedBarCnt: 0
; Occupancy: 16
; WaveLimiterHint : 0
; COMPUTE_PGM_RSRC2:SCRATCH_EN: 0
; COMPUTE_PGM_RSRC2:USER_SGPR: 2
; COMPUTE_PGM_RSRC2:TRAP_HANDLER: 0
; COMPUTE_PGM_RSRC2:TGID_X_EN: 1
; COMPUTE_PGM_RSRC2:TGID_Y_EN: 0
; COMPUTE_PGM_RSRC2:TGID_Z_EN: 0
; COMPUTE_PGM_RSRC2:TIDIG_COMP_CNT: 0
	.section	.text._Z25warp_store_guarded_kernelILj1024ELj4ELj32ELN6hipcub18WarpStoreAlgorithmE3EiEvPT3_S3_i,"axG",@progbits,_Z25warp_store_guarded_kernelILj1024ELj4ELj32ELN6hipcub18WarpStoreAlgorithmE3EiEvPT3_S3_i,comdat
	.protected	_Z25warp_store_guarded_kernelILj1024ELj4ELj32ELN6hipcub18WarpStoreAlgorithmE3EiEvPT3_S3_i ; -- Begin function _Z25warp_store_guarded_kernelILj1024ELj4ELj32ELN6hipcub18WarpStoreAlgorithmE3EiEvPT3_S3_i
	.globl	_Z25warp_store_guarded_kernelILj1024ELj4ELj32ELN6hipcub18WarpStoreAlgorithmE3EiEvPT3_S3_i
	.p2align	8
	.type	_Z25warp_store_guarded_kernelILj1024ELj4ELj32ELN6hipcub18WarpStoreAlgorithmE3EiEvPT3_S3_i,@function
_Z25warp_store_guarded_kernelILj1024ELj4ELj32ELN6hipcub18WarpStoreAlgorithmE3EiEvPT3_S3_i: ; @_Z25warp_store_guarded_kernelILj1024ELj4ELj32ELN6hipcub18WarpStoreAlgorithmE3EiEvPT3_S3_i
; %bb.0:
	s_clause 0x1
	s_load_b128 s[4:7], s[0:1], 0x0
	s_load_b32 s2, s[0:1], 0x10
	v_mbcnt_lo_u32_b32 v4, -1, 0
	s_wait_xcnt 0x0
	s_mov_b32 s0, exec_lo
	s_wait_kmcnt 0x0
	global_load_b128 v[8:11], v0, s[4:5] scale_offset
	s_wait_xcnt 0x0
	v_lshlrev_b32_e32 v0, 4, v0
	s_delay_alu instid0(VALU_DEP_1) | instskip(NEXT) | instid1(VALU_DEP_1)
	v_and_b32_e32 v0, 0x3e00, v0
	v_lshl_or_b32 v6, v4, 4, v0
	s_delay_alu instid0(VALU_DEP_1)
	v_mad_i32_i24 v1, v4, -12, v6
	s_wait_loadcnt 0x0
	ds_store_b128 v6, v[8:11]
	; wave barrier
	ds_load_2addr_b32 v[2:3], v1 offset0:32 offset1:64
	ds_load_b32 v5, v1 offset:384
	v_mov_b32_e32 v1, 0
	s_delay_alu instid0(VALU_DEP_1) | instskip(SKIP_1) | instid1(VALU_DEP_1)
	v_add_nc_u64_e32 v[8:9], s[6:7], v[0:1]
	v_lshlrev_b32_e32 v0, 2, v4
	v_add_nc_u64_e32 v[0:1], v[8:9], v[0:1]
	v_cmpx_gt_u32_e64 s2, v4
	s_cbranch_execz .LBB20_2
; %bb.1:
	v_mul_i32_i24_e32 v7, -12, v4
	s_delay_alu instid0(VALU_DEP_1)
	v_add_nc_u32_e32 v6, v6, v7
	ds_load_b32 v6, v6
	s_wait_dscnt 0x0
	global_store_b32 v[0:1], v6, off
.LBB20_2:
	s_wait_xcnt 0x0
	s_or_b32 exec_lo, exec_lo, s0
	v_or_b32_e32 v6, 32, v4
	s_mov_b32 s0, exec_lo
	s_delay_alu instid0(VALU_DEP_1)
	v_cmpx_gt_u32_e64 s2, v6
	s_cbranch_execz .LBB20_4
; %bb.3:
	s_wait_dscnt 0x1
	global_store_b32 v[0:1], v2, off offset:128
.LBB20_4:
	s_wait_xcnt 0x0
	s_or_b32 exec_lo, exec_lo, s0
	s_wait_dscnt 0x1
	v_or_b32_e32 v2, 64, v4
	s_mov_b32 s0, exec_lo
	s_delay_alu instid0(VALU_DEP_1)
	v_cmpx_gt_u32_e64 s2, v2
	s_cbranch_execz .LBB20_6
; %bb.5:
	global_store_b32 v[0:1], v3, off offset:256
.LBB20_6:
	s_wait_xcnt 0x0
	s_or_b32 exec_lo, exec_lo, s0
	v_or_b32_e32 v2, 0x60, v4
	s_mov_b32 s0, exec_lo
	s_delay_alu instid0(VALU_DEP_1)
	v_cmpx_gt_u32_e64 s2, v2
	s_cbranch_execz .LBB20_8
; %bb.7:
	s_wait_dscnt 0x0
	global_store_b32 v[0:1], v5, off offset:384
.LBB20_8:
	s_endpgm
	.section	.rodata,"a",@progbits
	.p2align	6, 0x0
	.amdhsa_kernel _Z25warp_store_guarded_kernelILj1024ELj4ELj32ELN6hipcub18WarpStoreAlgorithmE3EiEvPT3_S3_i
		.amdhsa_group_segment_fixed_size 16384
		.amdhsa_private_segment_fixed_size 0
		.amdhsa_kernarg_size 20
		.amdhsa_user_sgpr_count 2
		.amdhsa_user_sgpr_dispatch_ptr 0
		.amdhsa_user_sgpr_queue_ptr 0
		.amdhsa_user_sgpr_kernarg_segment_ptr 1
		.amdhsa_user_sgpr_dispatch_id 0
		.amdhsa_user_sgpr_kernarg_preload_length 0
		.amdhsa_user_sgpr_kernarg_preload_offset 0
		.amdhsa_user_sgpr_private_segment_size 0
		.amdhsa_wavefront_size32 1
		.amdhsa_uses_dynamic_stack 0
		.amdhsa_enable_private_segment 0
		.amdhsa_system_sgpr_workgroup_id_x 1
		.amdhsa_system_sgpr_workgroup_id_y 0
		.amdhsa_system_sgpr_workgroup_id_z 0
		.amdhsa_system_sgpr_workgroup_info 0
		.amdhsa_system_vgpr_workitem_id 0
		.amdhsa_next_free_vgpr 12
		.amdhsa_next_free_sgpr 8
		.amdhsa_named_barrier_count 0
		.amdhsa_reserve_vcc 0
		.amdhsa_float_round_mode_32 0
		.amdhsa_float_round_mode_16_64 0
		.amdhsa_float_denorm_mode_32 3
		.amdhsa_float_denorm_mode_16_64 3
		.amdhsa_fp16_overflow 0
		.amdhsa_memory_ordered 1
		.amdhsa_forward_progress 1
		.amdhsa_inst_pref_size 3
		.amdhsa_round_robin_scheduling 0
		.amdhsa_exception_fp_ieee_invalid_op 0
		.amdhsa_exception_fp_denorm_src 0
		.amdhsa_exception_fp_ieee_div_zero 0
		.amdhsa_exception_fp_ieee_overflow 0
		.amdhsa_exception_fp_ieee_underflow 0
		.amdhsa_exception_fp_ieee_inexact 0
		.amdhsa_exception_int_div_zero 0
	.end_amdhsa_kernel
	.section	.text._Z25warp_store_guarded_kernelILj1024ELj4ELj32ELN6hipcub18WarpStoreAlgorithmE3EiEvPT3_S3_i,"axG",@progbits,_Z25warp_store_guarded_kernelILj1024ELj4ELj32ELN6hipcub18WarpStoreAlgorithmE3EiEvPT3_S3_i,comdat
.Lfunc_end20:
	.size	_Z25warp_store_guarded_kernelILj1024ELj4ELj32ELN6hipcub18WarpStoreAlgorithmE3EiEvPT3_S3_i, .Lfunc_end20-_Z25warp_store_guarded_kernelILj1024ELj4ELj32ELN6hipcub18WarpStoreAlgorithmE3EiEvPT3_S3_i
                                        ; -- End function
	.set _Z25warp_store_guarded_kernelILj1024ELj4ELj32ELN6hipcub18WarpStoreAlgorithmE3EiEvPT3_S3_i.num_vgpr, 12
	.set _Z25warp_store_guarded_kernelILj1024ELj4ELj32ELN6hipcub18WarpStoreAlgorithmE3EiEvPT3_S3_i.num_agpr, 0
	.set _Z25warp_store_guarded_kernelILj1024ELj4ELj32ELN6hipcub18WarpStoreAlgorithmE3EiEvPT3_S3_i.numbered_sgpr, 8
	.set _Z25warp_store_guarded_kernelILj1024ELj4ELj32ELN6hipcub18WarpStoreAlgorithmE3EiEvPT3_S3_i.num_named_barrier, 0
	.set _Z25warp_store_guarded_kernelILj1024ELj4ELj32ELN6hipcub18WarpStoreAlgorithmE3EiEvPT3_S3_i.private_seg_size, 0
	.set _Z25warp_store_guarded_kernelILj1024ELj4ELj32ELN6hipcub18WarpStoreAlgorithmE3EiEvPT3_S3_i.uses_vcc, 0
	.set _Z25warp_store_guarded_kernelILj1024ELj4ELj32ELN6hipcub18WarpStoreAlgorithmE3EiEvPT3_S3_i.uses_flat_scratch, 0
	.set _Z25warp_store_guarded_kernelILj1024ELj4ELj32ELN6hipcub18WarpStoreAlgorithmE3EiEvPT3_S3_i.has_dyn_sized_stack, 0
	.set _Z25warp_store_guarded_kernelILj1024ELj4ELj32ELN6hipcub18WarpStoreAlgorithmE3EiEvPT3_S3_i.has_recursion, 0
	.set _Z25warp_store_guarded_kernelILj1024ELj4ELj32ELN6hipcub18WarpStoreAlgorithmE3EiEvPT3_S3_i.has_indirect_call, 0
	.section	.AMDGPU.csdata,"",@progbits
; Kernel info:
; codeLenInByte = 340
; TotalNumSgprs: 8
; NumVgprs: 12
; ScratchSize: 0
; MemoryBound: 0
; FloatMode: 240
; IeeeMode: 1
; LDSByteSize: 16384 bytes/workgroup (compile time only)
; SGPRBlocks: 0
; VGPRBlocks: 0
; NumSGPRsForWavesPerEU: 8
; NumVGPRsForWavesPerEU: 12
; NamedBarCnt: 0
; Occupancy: 16
; WaveLimiterHint : 0
; COMPUTE_PGM_RSRC2:SCRATCH_EN: 0
; COMPUTE_PGM_RSRC2:USER_SGPR: 2
; COMPUTE_PGM_RSRC2:TRAP_HANDLER: 0
; COMPUTE_PGM_RSRC2:TGID_X_EN: 1
; COMPUTE_PGM_RSRC2:TGID_Y_EN: 0
; COMPUTE_PGM_RSRC2:TGID_Z_EN: 0
; COMPUTE_PGM_RSRC2:TIDIG_COMP_CNT: 0
	.section	.text._Z25warp_store_guarded_kernelILj1024ELj4ELj32ELN6hipcub18WarpStoreAlgorithmE2EiEvPT3_S3_i,"axG",@progbits,_Z25warp_store_guarded_kernelILj1024ELj4ELj32ELN6hipcub18WarpStoreAlgorithmE2EiEvPT3_S3_i,comdat
	.protected	_Z25warp_store_guarded_kernelILj1024ELj4ELj32ELN6hipcub18WarpStoreAlgorithmE2EiEvPT3_S3_i ; -- Begin function _Z25warp_store_guarded_kernelILj1024ELj4ELj32ELN6hipcub18WarpStoreAlgorithmE2EiEvPT3_S3_i
	.globl	_Z25warp_store_guarded_kernelILj1024ELj4ELj32ELN6hipcub18WarpStoreAlgorithmE2EiEvPT3_S3_i
	.p2align	8
	.type	_Z25warp_store_guarded_kernelILj1024ELj4ELj32ELN6hipcub18WarpStoreAlgorithmE2EiEvPT3_S3_i,@function
_Z25warp_store_guarded_kernelILj1024ELj4ELj32ELN6hipcub18WarpStoreAlgorithmE2EiEvPT3_S3_i: ; @_Z25warp_store_guarded_kernelILj1024ELj4ELj32ELN6hipcub18WarpStoreAlgorithmE2EiEvPT3_S3_i
; %bb.0:
	s_load_b128 s[4:7], s[0:1], 0x0
	v_dual_mov_b32 v9, 0 :: v_dual_lshlrev_b32 v6, 4, v0
	s_wait_xcnt 0x0
	s_load_b32 s0, s[0:1], 0x10
	v_mbcnt_lo_u32_b32 v3, -1, 0
	s_wait_xcnt 0x0
	s_mov_b32 s1, exec_lo
	v_and_b32_e32 v8, 0x3e00, v6
	s_wait_kmcnt 0x0
	global_load_b96 v[0:2], v6, s[4:5] offset:4
	v_add_nc_u64_e32 v[4:5], s[6:7], v[8:9]
	v_dual_lshlrev_b32 v8, 4, v3 :: v_dual_lshlrev_b32 v3, 2, v3
	s_delay_alu instid0(VALU_DEP_1) | instskip(SKIP_1) | instid1(VALU_DEP_2)
	v_add_nc_u64_e32 v[4:5], v[4:5], v[8:9]
	s_wait_xcnt 0x0
	v_cmpx_gt_u32_e64 s0, v3
	s_cbranch_execz .LBB21_2
; %bb.1:
	v_mov_b32_e32 v7, v9
	s_delay_alu instid0(VALU_DEP_1)
	v_add_nc_u64_e32 v[6:7], s[4:5], v[6:7]
	global_load_b32 v6, v[6:7], off
	s_wait_loadcnt 0x0
	global_store_b32 v[4:5], v6, off
.LBB21_2:
	s_wait_xcnt 0x0
	s_or_b32 exec_lo, exec_lo, s1
	v_or_b32_e32 v6, 1, v3
	s_mov_b32 s1, exec_lo
	s_delay_alu instid0(VALU_DEP_1)
	v_cmpx_gt_u32_e64 s0, v6
	s_cbranch_execz .LBB21_4
; %bb.3:
	s_wait_loadcnt 0x0
	global_store_b32 v[4:5], v0, off offset:4
.LBB21_4:
	s_wait_xcnt 0x0
	s_or_b32 exec_lo, exec_lo, s1
	s_wait_loadcnt 0x0
	v_or_b32_e32 v0, 2, v3
	s_mov_b32 s1, exec_lo
	s_delay_alu instid0(VALU_DEP_1)
	v_cmpx_gt_u32_e64 s0, v0
	s_cbranch_execz .LBB21_6
; %bb.5:
	global_store_b32 v[4:5], v1, off offset:8
.LBB21_6:
	s_wait_xcnt 0x0
	s_or_b32 exec_lo, exec_lo, s1
	v_or_b32_e32 v0, 3, v3
	s_delay_alu instid0(VALU_DEP_1)
	v_cmp_gt_u32_e32 vcc_lo, s0, v0
	s_and_saveexec_b32 s0, vcc_lo
	s_cbranch_execz .LBB21_8
; %bb.7:
	global_store_b32 v[4:5], v2, off offset:12
.LBB21_8:
	s_endpgm
	.section	.rodata,"a",@progbits
	.p2align	6, 0x0
	.amdhsa_kernel _Z25warp_store_guarded_kernelILj1024ELj4ELj32ELN6hipcub18WarpStoreAlgorithmE2EiEvPT3_S3_i
		.amdhsa_group_segment_fixed_size 0
		.amdhsa_private_segment_fixed_size 0
		.amdhsa_kernarg_size 20
		.amdhsa_user_sgpr_count 2
		.amdhsa_user_sgpr_dispatch_ptr 0
		.amdhsa_user_sgpr_queue_ptr 0
		.amdhsa_user_sgpr_kernarg_segment_ptr 1
		.amdhsa_user_sgpr_dispatch_id 0
		.amdhsa_user_sgpr_kernarg_preload_length 0
		.amdhsa_user_sgpr_kernarg_preload_offset 0
		.amdhsa_user_sgpr_private_segment_size 0
		.amdhsa_wavefront_size32 1
		.amdhsa_uses_dynamic_stack 0
		.amdhsa_enable_private_segment 0
		.amdhsa_system_sgpr_workgroup_id_x 1
		.amdhsa_system_sgpr_workgroup_id_y 0
		.amdhsa_system_sgpr_workgroup_id_z 0
		.amdhsa_system_sgpr_workgroup_info 0
		.amdhsa_system_vgpr_workitem_id 0
		.amdhsa_next_free_vgpr 10
		.amdhsa_next_free_sgpr 8
		.amdhsa_named_barrier_count 0
		.amdhsa_reserve_vcc 1
		.amdhsa_float_round_mode_32 0
		.amdhsa_float_round_mode_16_64 0
		.amdhsa_float_denorm_mode_32 3
		.amdhsa_float_denorm_mode_16_64 3
		.amdhsa_fp16_overflow 0
		.amdhsa_memory_ordered 1
		.amdhsa_forward_progress 1
		.amdhsa_inst_pref_size 3
		.amdhsa_round_robin_scheduling 0
		.amdhsa_exception_fp_ieee_invalid_op 0
		.amdhsa_exception_fp_denorm_src 0
		.amdhsa_exception_fp_ieee_div_zero 0
		.amdhsa_exception_fp_ieee_overflow 0
		.amdhsa_exception_fp_ieee_underflow 0
		.amdhsa_exception_fp_ieee_inexact 0
		.amdhsa_exception_int_div_zero 0
	.end_amdhsa_kernel
	.section	.text._Z25warp_store_guarded_kernelILj1024ELj4ELj32ELN6hipcub18WarpStoreAlgorithmE2EiEvPT3_S3_i,"axG",@progbits,_Z25warp_store_guarded_kernelILj1024ELj4ELj32ELN6hipcub18WarpStoreAlgorithmE2EiEvPT3_S3_i,comdat
.Lfunc_end21:
	.size	_Z25warp_store_guarded_kernelILj1024ELj4ELj32ELN6hipcub18WarpStoreAlgorithmE2EiEvPT3_S3_i, .Lfunc_end21-_Z25warp_store_guarded_kernelILj1024ELj4ELj32ELN6hipcub18WarpStoreAlgorithmE2EiEvPT3_S3_i
                                        ; -- End function
	.set _Z25warp_store_guarded_kernelILj1024ELj4ELj32ELN6hipcub18WarpStoreAlgorithmE2EiEvPT3_S3_i.num_vgpr, 10
	.set _Z25warp_store_guarded_kernelILj1024ELj4ELj32ELN6hipcub18WarpStoreAlgorithmE2EiEvPT3_S3_i.num_agpr, 0
	.set _Z25warp_store_guarded_kernelILj1024ELj4ELj32ELN6hipcub18WarpStoreAlgorithmE2EiEvPT3_S3_i.numbered_sgpr, 8
	.set _Z25warp_store_guarded_kernelILj1024ELj4ELj32ELN6hipcub18WarpStoreAlgorithmE2EiEvPT3_S3_i.num_named_barrier, 0
	.set _Z25warp_store_guarded_kernelILj1024ELj4ELj32ELN6hipcub18WarpStoreAlgorithmE2EiEvPT3_S3_i.private_seg_size, 0
	.set _Z25warp_store_guarded_kernelILj1024ELj4ELj32ELN6hipcub18WarpStoreAlgorithmE2EiEvPT3_S3_i.uses_vcc, 1
	.set _Z25warp_store_guarded_kernelILj1024ELj4ELj32ELN6hipcub18WarpStoreAlgorithmE2EiEvPT3_S3_i.uses_flat_scratch, 0
	.set _Z25warp_store_guarded_kernelILj1024ELj4ELj32ELN6hipcub18WarpStoreAlgorithmE2EiEvPT3_S3_i.has_dyn_sized_stack, 0
	.set _Z25warp_store_guarded_kernelILj1024ELj4ELj32ELN6hipcub18WarpStoreAlgorithmE2EiEvPT3_S3_i.has_recursion, 0
	.set _Z25warp_store_guarded_kernelILj1024ELj4ELj32ELN6hipcub18WarpStoreAlgorithmE2EiEvPT3_S3_i.has_indirect_call, 0
	.section	.AMDGPU.csdata,"",@progbits
; Kernel info:
; codeLenInByte = 288
; TotalNumSgprs: 10
; NumVgprs: 10
; ScratchSize: 0
; MemoryBound: 0
; FloatMode: 240
; IeeeMode: 1
; LDSByteSize: 0 bytes/workgroup (compile time only)
; SGPRBlocks: 0
; VGPRBlocks: 0
; NumSGPRsForWavesPerEU: 10
; NumVGPRsForWavesPerEU: 10
; NamedBarCnt: 0
; Occupancy: 16
; WaveLimiterHint : 0
; COMPUTE_PGM_RSRC2:SCRATCH_EN: 0
; COMPUTE_PGM_RSRC2:USER_SGPR: 2
; COMPUTE_PGM_RSRC2:TRAP_HANDLER: 0
; COMPUTE_PGM_RSRC2:TGID_X_EN: 1
; COMPUTE_PGM_RSRC2:TGID_Y_EN: 0
; COMPUTE_PGM_RSRC2:TGID_Z_EN: 0
; COMPUTE_PGM_RSRC2:TIDIG_COMP_CNT: 0
	.section	.text._Z25warp_store_guarded_kernelILj1024ELj4ELj32ELN6hipcub18WarpStoreAlgorithmE1EiEvPT3_S3_i,"axG",@progbits,_Z25warp_store_guarded_kernelILj1024ELj4ELj32ELN6hipcub18WarpStoreAlgorithmE1EiEvPT3_S3_i,comdat
	.protected	_Z25warp_store_guarded_kernelILj1024ELj4ELj32ELN6hipcub18WarpStoreAlgorithmE1EiEvPT3_S3_i ; -- Begin function _Z25warp_store_guarded_kernelILj1024ELj4ELj32ELN6hipcub18WarpStoreAlgorithmE1EiEvPT3_S3_i
	.globl	_Z25warp_store_guarded_kernelILj1024ELj4ELj32ELN6hipcub18WarpStoreAlgorithmE1EiEvPT3_S3_i
	.p2align	8
	.type	_Z25warp_store_guarded_kernelILj1024ELj4ELj32ELN6hipcub18WarpStoreAlgorithmE1EiEvPT3_S3_i,@function
_Z25warp_store_guarded_kernelILj1024ELj4ELj32ELN6hipcub18WarpStoreAlgorithmE1EiEvPT3_S3_i: ; @_Z25warp_store_guarded_kernelILj1024ELj4ELj32ELN6hipcub18WarpStoreAlgorithmE1EiEvPT3_S3_i
; %bb.0:
	s_load_b128 s[4:7], s[0:1], 0x0
	v_dual_mov_b32 v9, 0 :: v_dual_lshlrev_b32 v6, 4, v0
	s_wait_xcnt 0x0
	s_load_b32 s0, s[0:1], 0x10
	v_mbcnt_lo_u32_b32 v3, -1, 0
	s_wait_xcnt 0x0
	s_mov_b32 s1, exec_lo
	v_and_b32_e32 v8, 0x3e00, v6
	s_wait_kmcnt 0x0
	global_load_b96 v[0:2], v6, s[4:5] offset:4
	v_add_nc_u64_e32 v[4:5], s[6:7], v[8:9]
	v_lshlrev_b32_e32 v8, 2, v3
	s_delay_alu instid0(VALU_DEP_1)
	v_add_nc_u64_e32 v[4:5], v[4:5], v[8:9]
	s_wait_xcnt 0x0
	v_cmpx_gt_u32_e64 s0, v3
	s_cbranch_execz .LBB22_2
; %bb.1:
	v_mov_b32_e32 v7, v9
	s_delay_alu instid0(VALU_DEP_1)
	v_add_nc_u64_e32 v[6:7], s[4:5], v[6:7]
	global_load_b32 v6, v[6:7], off
	s_wait_loadcnt 0x0
	global_store_b32 v[4:5], v6, off
.LBB22_2:
	s_wait_xcnt 0x0
	s_or_b32 exec_lo, exec_lo, s1
	v_or_b32_e32 v6, 32, v3
	s_mov_b32 s1, exec_lo
	s_delay_alu instid0(VALU_DEP_1)
	v_cmpx_gt_u32_e64 s0, v6
	s_cbranch_execz .LBB22_4
; %bb.3:
	s_wait_loadcnt 0x0
	global_store_b32 v[4:5], v0, off offset:128
.LBB22_4:
	s_wait_xcnt 0x0
	s_or_b32 exec_lo, exec_lo, s1
	s_wait_loadcnt 0x0
	v_or_b32_e32 v0, 64, v3
	s_mov_b32 s1, exec_lo
	s_delay_alu instid0(VALU_DEP_1)
	v_cmpx_gt_u32_e64 s0, v0
	s_cbranch_execz .LBB22_6
; %bb.5:
	global_store_b32 v[4:5], v1, off offset:256
.LBB22_6:
	s_wait_xcnt 0x0
	s_or_b32 exec_lo, exec_lo, s1
	v_or_b32_e32 v0, 0x60, v3
	s_delay_alu instid0(VALU_DEP_1)
	v_cmp_gt_u32_e32 vcc_lo, s0, v0
	s_and_saveexec_b32 s0, vcc_lo
	s_cbranch_execz .LBB22_8
; %bb.7:
	global_store_b32 v[4:5], v2, off offset:384
.LBB22_8:
	s_endpgm
	.section	.rodata,"a",@progbits
	.p2align	6, 0x0
	.amdhsa_kernel _Z25warp_store_guarded_kernelILj1024ELj4ELj32ELN6hipcub18WarpStoreAlgorithmE1EiEvPT3_S3_i
		.amdhsa_group_segment_fixed_size 0
		.amdhsa_private_segment_fixed_size 0
		.amdhsa_kernarg_size 20
		.amdhsa_user_sgpr_count 2
		.amdhsa_user_sgpr_dispatch_ptr 0
		.amdhsa_user_sgpr_queue_ptr 0
		.amdhsa_user_sgpr_kernarg_segment_ptr 1
		.amdhsa_user_sgpr_dispatch_id 0
		.amdhsa_user_sgpr_kernarg_preload_length 0
		.amdhsa_user_sgpr_kernarg_preload_offset 0
		.amdhsa_user_sgpr_private_segment_size 0
		.amdhsa_wavefront_size32 1
		.amdhsa_uses_dynamic_stack 0
		.amdhsa_enable_private_segment 0
		.amdhsa_system_sgpr_workgroup_id_x 1
		.amdhsa_system_sgpr_workgroup_id_y 0
		.amdhsa_system_sgpr_workgroup_id_z 0
		.amdhsa_system_sgpr_workgroup_info 0
		.amdhsa_system_vgpr_workitem_id 0
		.amdhsa_next_free_vgpr 10
		.amdhsa_next_free_sgpr 8
		.amdhsa_named_barrier_count 0
		.amdhsa_reserve_vcc 1
		.amdhsa_float_round_mode_32 0
		.amdhsa_float_round_mode_16_64 0
		.amdhsa_float_denorm_mode_32 3
		.amdhsa_float_denorm_mode_16_64 3
		.amdhsa_fp16_overflow 0
		.amdhsa_memory_ordered 1
		.amdhsa_forward_progress 1
		.amdhsa_inst_pref_size 3
		.amdhsa_round_robin_scheduling 0
		.amdhsa_exception_fp_ieee_invalid_op 0
		.amdhsa_exception_fp_denorm_src 0
		.amdhsa_exception_fp_ieee_div_zero 0
		.amdhsa_exception_fp_ieee_overflow 0
		.amdhsa_exception_fp_ieee_underflow 0
		.amdhsa_exception_fp_ieee_inexact 0
		.amdhsa_exception_int_div_zero 0
	.end_amdhsa_kernel
	.section	.text._Z25warp_store_guarded_kernelILj1024ELj4ELj32ELN6hipcub18WarpStoreAlgorithmE1EiEvPT3_S3_i,"axG",@progbits,_Z25warp_store_guarded_kernelILj1024ELj4ELj32ELN6hipcub18WarpStoreAlgorithmE1EiEvPT3_S3_i,comdat
.Lfunc_end22:
	.size	_Z25warp_store_guarded_kernelILj1024ELj4ELj32ELN6hipcub18WarpStoreAlgorithmE1EiEvPT3_S3_i, .Lfunc_end22-_Z25warp_store_guarded_kernelILj1024ELj4ELj32ELN6hipcub18WarpStoreAlgorithmE1EiEvPT3_S3_i
                                        ; -- End function
	.set _Z25warp_store_guarded_kernelILj1024ELj4ELj32ELN6hipcub18WarpStoreAlgorithmE1EiEvPT3_S3_i.num_vgpr, 10
	.set _Z25warp_store_guarded_kernelILj1024ELj4ELj32ELN6hipcub18WarpStoreAlgorithmE1EiEvPT3_S3_i.num_agpr, 0
	.set _Z25warp_store_guarded_kernelILj1024ELj4ELj32ELN6hipcub18WarpStoreAlgorithmE1EiEvPT3_S3_i.numbered_sgpr, 8
	.set _Z25warp_store_guarded_kernelILj1024ELj4ELj32ELN6hipcub18WarpStoreAlgorithmE1EiEvPT3_S3_i.num_named_barrier, 0
	.set _Z25warp_store_guarded_kernelILj1024ELj4ELj32ELN6hipcub18WarpStoreAlgorithmE1EiEvPT3_S3_i.private_seg_size, 0
	.set _Z25warp_store_guarded_kernelILj1024ELj4ELj32ELN6hipcub18WarpStoreAlgorithmE1EiEvPT3_S3_i.uses_vcc, 1
	.set _Z25warp_store_guarded_kernelILj1024ELj4ELj32ELN6hipcub18WarpStoreAlgorithmE1EiEvPT3_S3_i.uses_flat_scratch, 0
	.set _Z25warp_store_guarded_kernelILj1024ELj4ELj32ELN6hipcub18WarpStoreAlgorithmE1EiEvPT3_S3_i.has_dyn_sized_stack, 0
	.set _Z25warp_store_guarded_kernelILj1024ELj4ELj32ELN6hipcub18WarpStoreAlgorithmE1EiEvPT3_S3_i.has_recursion, 0
	.set _Z25warp_store_guarded_kernelILj1024ELj4ELj32ELN6hipcub18WarpStoreAlgorithmE1EiEvPT3_S3_i.has_indirect_call, 0
	.section	.AMDGPU.csdata,"",@progbits
; Kernel info:
; codeLenInByte = 284
; TotalNumSgprs: 10
; NumVgprs: 10
; ScratchSize: 0
; MemoryBound: 0
; FloatMode: 240
; IeeeMode: 1
; LDSByteSize: 0 bytes/workgroup (compile time only)
; SGPRBlocks: 0
; VGPRBlocks: 0
; NumSGPRsForWavesPerEU: 10
; NumVGPRsForWavesPerEU: 10
; NamedBarCnt: 0
; Occupancy: 16
; WaveLimiterHint : 0
; COMPUTE_PGM_RSRC2:SCRATCH_EN: 0
; COMPUTE_PGM_RSRC2:USER_SGPR: 2
; COMPUTE_PGM_RSRC2:TRAP_HANDLER: 0
; COMPUTE_PGM_RSRC2:TGID_X_EN: 1
; COMPUTE_PGM_RSRC2:TGID_Y_EN: 0
; COMPUTE_PGM_RSRC2:TGID_Z_EN: 0
; COMPUTE_PGM_RSRC2:TIDIG_COMP_CNT: 0
	.section	.text._Z25warp_store_guarded_kernelILj1024ELj4ELj32ELN6hipcub18WarpStoreAlgorithmE0EiEvPT3_S3_i,"axG",@progbits,_Z25warp_store_guarded_kernelILj1024ELj4ELj32ELN6hipcub18WarpStoreAlgorithmE0EiEvPT3_S3_i,comdat
	.protected	_Z25warp_store_guarded_kernelILj1024ELj4ELj32ELN6hipcub18WarpStoreAlgorithmE0EiEvPT3_S3_i ; -- Begin function _Z25warp_store_guarded_kernelILj1024ELj4ELj32ELN6hipcub18WarpStoreAlgorithmE0EiEvPT3_S3_i
	.globl	_Z25warp_store_guarded_kernelILj1024ELj4ELj32ELN6hipcub18WarpStoreAlgorithmE0EiEvPT3_S3_i
	.p2align	8
	.type	_Z25warp_store_guarded_kernelILj1024ELj4ELj32ELN6hipcub18WarpStoreAlgorithmE0EiEvPT3_S3_i,@function
_Z25warp_store_guarded_kernelILj1024ELj4ELj32ELN6hipcub18WarpStoreAlgorithmE0EiEvPT3_S3_i: ; @_Z25warp_store_guarded_kernelILj1024ELj4ELj32ELN6hipcub18WarpStoreAlgorithmE0EiEvPT3_S3_i
; %bb.0:
	s_load_b128 s[4:7], s[0:1], 0x0
	v_dual_mov_b32 v9, 0 :: v_dual_lshlrev_b32 v6, 4, v0
	s_wait_xcnt 0x0
	s_load_b32 s0, s[0:1], 0x10
	v_mbcnt_lo_u32_b32 v3, -1, 0
	s_wait_xcnt 0x0
	s_mov_b32 s1, exec_lo
	v_and_b32_e32 v8, 0x3e00, v6
	s_wait_kmcnt 0x0
	global_load_b96 v[0:2], v6, s[4:5] offset:4
	v_add_nc_u64_e32 v[4:5], s[6:7], v[8:9]
	v_dual_lshlrev_b32 v8, 4, v3 :: v_dual_lshlrev_b32 v3, 2, v3
	s_delay_alu instid0(VALU_DEP_1) | instskip(SKIP_1) | instid1(VALU_DEP_2)
	v_add_nc_u64_e32 v[4:5], v[4:5], v[8:9]
	s_wait_xcnt 0x0
	v_cmpx_gt_u32_e64 s0, v3
	s_cbranch_execz .LBB23_2
; %bb.1:
	v_mov_b32_e32 v7, v9
	s_delay_alu instid0(VALU_DEP_1)
	v_add_nc_u64_e32 v[6:7], s[4:5], v[6:7]
	global_load_b32 v6, v[6:7], off
	s_wait_loadcnt 0x0
	global_store_b32 v[4:5], v6, off
.LBB23_2:
	s_wait_xcnt 0x0
	s_or_b32 exec_lo, exec_lo, s1
	v_or_b32_e32 v6, 1, v3
	s_mov_b32 s1, exec_lo
	s_delay_alu instid0(VALU_DEP_1)
	v_cmpx_gt_u32_e64 s0, v6
	s_cbranch_execz .LBB23_4
; %bb.3:
	s_wait_loadcnt 0x0
	global_store_b32 v[4:5], v0, off offset:4
.LBB23_4:
	s_wait_xcnt 0x0
	s_or_b32 exec_lo, exec_lo, s1
	s_wait_loadcnt 0x0
	v_or_b32_e32 v0, 2, v3
	s_mov_b32 s1, exec_lo
	s_delay_alu instid0(VALU_DEP_1)
	v_cmpx_gt_u32_e64 s0, v0
	s_cbranch_execz .LBB23_6
; %bb.5:
	global_store_b32 v[4:5], v1, off offset:8
.LBB23_6:
	s_wait_xcnt 0x0
	s_or_b32 exec_lo, exec_lo, s1
	v_or_b32_e32 v0, 3, v3
	s_delay_alu instid0(VALU_DEP_1)
	v_cmp_gt_u32_e32 vcc_lo, s0, v0
	s_and_saveexec_b32 s0, vcc_lo
	s_cbranch_execz .LBB23_8
; %bb.7:
	global_store_b32 v[4:5], v2, off offset:12
.LBB23_8:
	s_endpgm
	.section	.rodata,"a",@progbits
	.p2align	6, 0x0
	.amdhsa_kernel _Z25warp_store_guarded_kernelILj1024ELj4ELj32ELN6hipcub18WarpStoreAlgorithmE0EiEvPT3_S3_i
		.amdhsa_group_segment_fixed_size 0
		.amdhsa_private_segment_fixed_size 0
		.amdhsa_kernarg_size 20
		.amdhsa_user_sgpr_count 2
		.amdhsa_user_sgpr_dispatch_ptr 0
		.amdhsa_user_sgpr_queue_ptr 0
		.amdhsa_user_sgpr_kernarg_segment_ptr 1
		.amdhsa_user_sgpr_dispatch_id 0
		.amdhsa_user_sgpr_kernarg_preload_length 0
		.amdhsa_user_sgpr_kernarg_preload_offset 0
		.amdhsa_user_sgpr_private_segment_size 0
		.amdhsa_wavefront_size32 1
		.amdhsa_uses_dynamic_stack 0
		.amdhsa_enable_private_segment 0
		.amdhsa_system_sgpr_workgroup_id_x 1
		.amdhsa_system_sgpr_workgroup_id_y 0
		.amdhsa_system_sgpr_workgroup_id_z 0
		.amdhsa_system_sgpr_workgroup_info 0
		.amdhsa_system_vgpr_workitem_id 0
		.amdhsa_next_free_vgpr 10
		.amdhsa_next_free_sgpr 8
		.amdhsa_named_barrier_count 0
		.amdhsa_reserve_vcc 1
		.amdhsa_float_round_mode_32 0
		.amdhsa_float_round_mode_16_64 0
		.amdhsa_float_denorm_mode_32 3
		.amdhsa_float_denorm_mode_16_64 3
		.amdhsa_fp16_overflow 0
		.amdhsa_memory_ordered 1
		.amdhsa_forward_progress 1
		.amdhsa_inst_pref_size 3
		.amdhsa_round_robin_scheduling 0
		.amdhsa_exception_fp_ieee_invalid_op 0
		.amdhsa_exception_fp_denorm_src 0
		.amdhsa_exception_fp_ieee_div_zero 0
		.amdhsa_exception_fp_ieee_overflow 0
		.amdhsa_exception_fp_ieee_underflow 0
		.amdhsa_exception_fp_ieee_inexact 0
		.amdhsa_exception_int_div_zero 0
	.end_amdhsa_kernel
	.section	.text._Z25warp_store_guarded_kernelILj1024ELj4ELj32ELN6hipcub18WarpStoreAlgorithmE0EiEvPT3_S3_i,"axG",@progbits,_Z25warp_store_guarded_kernelILj1024ELj4ELj32ELN6hipcub18WarpStoreAlgorithmE0EiEvPT3_S3_i,comdat
.Lfunc_end23:
	.size	_Z25warp_store_guarded_kernelILj1024ELj4ELj32ELN6hipcub18WarpStoreAlgorithmE0EiEvPT3_S3_i, .Lfunc_end23-_Z25warp_store_guarded_kernelILj1024ELj4ELj32ELN6hipcub18WarpStoreAlgorithmE0EiEvPT3_S3_i
                                        ; -- End function
	.set _Z25warp_store_guarded_kernelILj1024ELj4ELj32ELN6hipcub18WarpStoreAlgorithmE0EiEvPT3_S3_i.num_vgpr, 10
	.set _Z25warp_store_guarded_kernelILj1024ELj4ELj32ELN6hipcub18WarpStoreAlgorithmE0EiEvPT3_S3_i.num_agpr, 0
	.set _Z25warp_store_guarded_kernelILj1024ELj4ELj32ELN6hipcub18WarpStoreAlgorithmE0EiEvPT3_S3_i.numbered_sgpr, 8
	.set _Z25warp_store_guarded_kernelILj1024ELj4ELj32ELN6hipcub18WarpStoreAlgorithmE0EiEvPT3_S3_i.num_named_barrier, 0
	.set _Z25warp_store_guarded_kernelILj1024ELj4ELj32ELN6hipcub18WarpStoreAlgorithmE0EiEvPT3_S3_i.private_seg_size, 0
	.set _Z25warp_store_guarded_kernelILj1024ELj4ELj32ELN6hipcub18WarpStoreAlgorithmE0EiEvPT3_S3_i.uses_vcc, 1
	.set _Z25warp_store_guarded_kernelILj1024ELj4ELj32ELN6hipcub18WarpStoreAlgorithmE0EiEvPT3_S3_i.uses_flat_scratch, 0
	.set _Z25warp_store_guarded_kernelILj1024ELj4ELj32ELN6hipcub18WarpStoreAlgorithmE0EiEvPT3_S3_i.has_dyn_sized_stack, 0
	.set _Z25warp_store_guarded_kernelILj1024ELj4ELj32ELN6hipcub18WarpStoreAlgorithmE0EiEvPT3_S3_i.has_recursion, 0
	.set _Z25warp_store_guarded_kernelILj1024ELj4ELj32ELN6hipcub18WarpStoreAlgorithmE0EiEvPT3_S3_i.has_indirect_call, 0
	.section	.AMDGPU.csdata,"",@progbits
; Kernel info:
; codeLenInByte = 288
; TotalNumSgprs: 10
; NumVgprs: 10
; ScratchSize: 0
; MemoryBound: 0
; FloatMode: 240
; IeeeMode: 1
; LDSByteSize: 0 bytes/workgroup (compile time only)
; SGPRBlocks: 0
; VGPRBlocks: 0
; NumSGPRsForWavesPerEU: 10
; NumVGPRsForWavesPerEU: 10
; NamedBarCnt: 0
; Occupancy: 16
; WaveLimiterHint : 0
; COMPUTE_PGM_RSRC2:SCRATCH_EN: 0
; COMPUTE_PGM_RSRC2:USER_SGPR: 2
; COMPUTE_PGM_RSRC2:TRAP_HANDLER: 0
; COMPUTE_PGM_RSRC2:TGID_X_EN: 1
; COMPUTE_PGM_RSRC2:TGID_Y_EN: 0
; COMPUTE_PGM_RSRC2:TGID_Z_EN: 0
; COMPUTE_PGM_RSRC2:TIDIG_COMP_CNT: 0
	.section	.text._Z25warp_store_guarded_kernelILj1024ELj4ELj16ELN6hipcub18WarpStoreAlgorithmE3EiEvPT3_S3_i,"axG",@progbits,_Z25warp_store_guarded_kernelILj1024ELj4ELj16ELN6hipcub18WarpStoreAlgorithmE3EiEvPT3_S3_i,comdat
	.protected	_Z25warp_store_guarded_kernelILj1024ELj4ELj16ELN6hipcub18WarpStoreAlgorithmE3EiEvPT3_S3_i ; -- Begin function _Z25warp_store_guarded_kernelILj1024ELj4ELj16ELN6hipcub18WarpStoreAlgorithmE3EiEvPT3_S3_i
	.globl	_Z25warp_store_guarded_kernelILj1024ELj4ELj16ELN6hipcub18WarpStoreAlgorithmE3EiEvPT3_S3_i
	.p2align	8
	.type	_Z25warp_store_guarded_kernelILj1024ELj4ELj16ELN6hipcub18WarpStoreAlgorithmE3EiEvPT3_S3_i,@function
_Z25warp_store_guarded_kernelILj1024ELj4ELj16ELN6hipcub18WarpStoreAlgorithmE3EiEvPT3_S3_i: ; @_Z25warp_store_guarded_kernelILj1024ELj4ELj16ELN6hipcub18WarpStoreAlgorithmE3EiEvPT3_S3_i
; %bb.0:
	s_clause 0x1
	s_load_b128 s[4:7], s[0:1], 0x0
	s_load_b32 s2, s[0:1], 0x10
	v_mbcnt_lo_u32_b32 v1, -1, 0
	s_wait_xcnt 0x0
	s_mov_b32 s0, exec_lo
	s_delay_alu instid0(VALU_DEP_1) | instskip(SKIP_4) | instid1(VALU_DEP_1)
	v_and_b32_e32 v4, 15, v1
	s_wait_kmcnt 0x0
	global_load_b128 v[8:11], v0, s[4:5] scale_offset
	s_wait_xcnt 0x0
	v_lshlrev_b32_e32 v0, 4, v0
	v_and_b32_e32 v0, 0x3f00, v0
	s_delay_alu instid0(VALU_DEP_1) | instskip(NEXT) | instid1(VALU_DEP_1)
	v_lshl_or_b32 v6, v4, 4, v0
	v_mad_i32_i24 v1, v4, -12, v6
	s_wait_loadcnt 0x0
	ds_store_b128 v6, v[8:11]
	; wave barrier
	ds_load_2addr_b32 v[2:3], v1 offset0:16 offset1:32
	ds_load_b32 v5, v1 offset:192
	v_mov_b32_e32 v1, 0
	s_delay_alu instid0(VALU_DEP_1) | instskip(SKIP_1) | instid1(VALU_DEP_1)
	v_add_nc_u64_e32 v[8:9], s[6:7], v[0:1]
	v_lshlrev_b32_e32 v0, 2, v4
	v_add_nc_u64_e32 v[0:1], v[8:9], v[0:1]
	v_cmpx_gt_u32_e64 s2, v4
	s_cbranch_execz .LBB24_2
; %bb.1:
	v_mul_i32_i24_e32 v7, -12, v4
	s_delay_alu instid0(VALU_DEP_1)
	v_add_nc_u32_e32 v6, v6, v7
	ds_load_b32 v6, v6
	s_wait_dscnt 0x0
	global_store_b32 v[0:1], v6, off
.LBB24_2:
	s_wait_xcnt 0x0
	s_or_b32 exec_lo, exec_lo, s0
	v_or_b32_e32 v6, 16, v4
	s_mov_b32 s0, exec_lo
	s_delay_alu instid0(VALU_DEP_1)
	v_cmpx_gt_u32_e64 s2, v6
	s_cbranch_execz .LBB24_4
; %bb.3:
	s_wait_dscnt 0x1
	global_store_b32 v[0:1], v2, off offset:64
.LBB24_4:
	s_wait_xcnt 0x0
	s_or_b32 exec_lo, exec_lo, s0
	s_wait_dscnt 0x1
	v_or_b32_e32 v2, 32, v4
	s_mov_b32 s0, exec_lo
	s_delay_alu instid0(VALU_DEP_1)
	v_cmpx_gt_u32_e64 s2, v2
	s_cbranch_execz .LBB24_6
; %bb.5:
	global_store_b32 v[0:1], v3, off offset:128
.LBB24_6:
	s_wait_xcnt 0x0
	s_or_b32 exec_lo, exec_lo, s0
	v_or_b32_e32 v2, 48, v4
	s_mov_b32 s0, exec_lo
	s_delay_alu instid0(VALU_DEP_1)
	v_cmpx_gt_u32_e64 s2, v2
	s_cbranch_execz .LBB24_8
; %bb.7:
	s_wait_dscnt 0x0
	global_store_b32 v[0:1], v5, off offset:192
.LBB24_8:
	s_endpgm
	.section	.rodata,"a",@progbits
	.p2align	6, 0x0
	.amdhsa_kernel _Z25warp_store_guarded_kernelILj1024ELj4ELj16ELN6hipcub18WarpStoreAlgorithmE3EiEvPT3_S3_i
		.amdhsa_group_segment_fixed_size 16384
		.amdhsa_private_segment_fixed_size 0
		.amdhsa_kernarg_size 20
		.amdhsa_user_sgpr_count 2
		.amdhsa_user_sgpr_dispatch_ptr 0
		.amdhsa_user_sgpr_queue_ptr 0
		.amdhsa_user_sgpr_kernarg_segment_ptr 1
		.amdhsa_user_sgpr_dispatch_id 0
		.amdhsa_user_sgpr_kernarg_preload_length 0
		.amdhsa_user_sgpr_kernarg_preload_offset 0
		.amdhsa_user_sgpr_private_segment_size 0
		.amdhsa_wavefront_size32 1
		.amdhsa_uses_dynamic_stack 0
		.amdhsa_enable_private_segment 0
		.amdhsa_system_sgpr_workgroup_id_x 1
		.amdhsa_system_sgpr_workgroup_id_y 0
		.amdhsa_system_sgpr_workgroup_id_z 0
		.amdhsa_system_sgpr_workgroup_info 0
		.amdhsa_system_vgpr_workitem_id 0
		.amdhsa_next_free_vgpr 12
		.amdhsa_next_free_sgpr 8
		.amdhsa_named_barrier_count 0
		.amdhsa_reserve_vcc 0
		.amdhsa_float_round_mode_32 0
		.amdhsa_float_round_mode_16_64 0
		.amdhsa_float_denorm_mode_32 3
		.amdhsa_float_denorm_mode_16_64 3
		.amdhsa_fp16_overflow 0
		.amdhsa_memory_ordered 1
		.amdhsa_forward_progress 1
		.amdhsa_inst_pref_size 3
		.amdhsa_round_robin_scheduling 0
		.amdhsa_exception_fp_ieee_invalid_op 0
		.amdhsa_exception_fp_denorm_src 0
		.amdhsa_exception_fp_ieee_div_zero 0
		.amdhsa_exception_fp_ieee_overflow 0
		.amdhsa_exception_fp_ieee_underflow 0
		.amdhsa_exception_fp_ieee_inexact 0
		.amdhsa_exception_int_div_zero 0
	.end_amdhsa_kernel
	.section	.text._Z25warp_store_guarded_kernelILj1024ELj4ELj16ELN6hipcub18WarpStoreAlgorithmE3EiEvPT3_S3_i,"axG",@progbits,_Z25warp_store_guarded_kernelILj1024ELj4ELj16ELN6hipcub18WarpStoreAlgorithmE3EiEvPT3_S3_i,comdat
.Lfunc_end24:
	.size	_Z25warp_store_guarded_kernelILj1024ELj4ELj16ELN6hipcub18WarpStoreAlgorithmE3EiEvPT3_S3_i, .Lfunc_end24-_Z25warp_store_guarded_kernelILj1024ELj4ELj16ELN6hipcub18WarpStoreAlgorithmE3EiEvPT3_S3_i
                                        ; -- End function
	.set _Z25warp_store_guarded_kernelILj1024ELj4ELj16ELN6hipcub18WarpStoreAlgorithmE3EiEvPT3_S3_i.num_vgpr, 12
	.set _Z25warp_store_guarded_kernelILj1024ELj4ELj16ELN6hipcub18WarpStoreAlgorithmE3EiEvPT3_S3_i.num_agpr, 0
	.set _Z25warp_store_guarded_kernelILj1024ELj4ELj16ELN6hipcub18WarpStoreAlgorithmE3EiEvPT3_S3_i.numbered_sgpr, 8
	.set _Z25warp_store_guarded_kernelILj1024ELj4ELj16ELN6hipcub18WarpStoreAlgorithmE3EiEvPT3_S3_i.num_named_barrier, 0
	.set _Z25warp_store_guarded_kernelILj1024ELj4ELj16ELN6hipcub18WarpStoreAlgorithmE3EiEvPT3_S3_i.private_seg_size, 0
	.set _Z25warp_store_guarded_kernelILj1024ELj4ELj16ELN6hipcub18WarpStoreAlgorithmE3EiEvPT3_S3_i.uses_vcc, 0
	.set _Z25warp_store_guarded_kernelILj1024ELj4ELj16ELN6hipcub18WarpStoreAlgorithmE3EiEvPT3_S3_i.uses_flat_scratch, 0
	.set _Z25warp_store_guarded_kernelILj1024ELj4ELj16ELN6hipcub18WarpStoreAlgorithmE3EiEvPT3_S3_i.has_dyn_sized_stack, 0
	.set _Z25warp_store_guarded_kernelILj1024ELj4ELj16ELN6hipcub18WarpStoreAlgorithmE3EiEvPT3_S3_i.has_recursion, 0
	.set _Z25warp_store_guarded_kernelILj1024ELj4ELj16ELN6hipcub18WarpStoreAlgorithmE3EiEvPT3_S3_i.has_indirect_call, 0
	.section	.AMDGPU.csdata,"",@progbits
; Kernel info:
; codeLenInByte = 340
; TotalNumSgprs: 8
; NumVgprs: 12
; ScratchSize: 0
; MemoryBound: 0
; FloatMode: 240
; IeeeMode: 1
; LDSByteSize: 16384 bytes/workgroup (compile time only)
; SGPRBlocks: 0
; VGPRBlocks: 0
; NumSGPRsForWavesPerEU: 8
; NumVGPRsForWavesPerEU: 12
; NamedBarCnt: 0
; Occupancy: 16
; WaveLimiterHint : 0
; COMPUTE_PGM_RSRC2:SCRATCH_EN: 0
; COMPUTE_PGM_RSRC2:USER_SGPR: 2
; COMPUTE_PGM_RSRC2:TRAP_HANDLER: 0
; COMPUTE_PGM_RSRC2:TGID_X_EN: 1
; COMPUTE_PGM_RSRC2:TGID_Y_EN: 0
; COMPUTE_PGM_RSRC2:TGID_Z_EN: 0
; COMPUTE_PGM_RSRC2:TIDIG_COMP_CNT: 0
	.section	.text._Z25warp_store_guarded_kernelILj1024ELj4ELj16ELN6hipcub18WarpStoreAlgorithmE2EiEvPT3_S3_i,"axG",@progbits,_Z25warp_store_guarded_kernelILj1024ELj4ELj16ELN6hipcub18WarpStoreAlgorithmE2EiEvPT3_S3_i,comdat
	.protected	_Z25warp_store_guarded_kernelILj1024ELj4ELj16ELN6hipcub18WarpStoreAlgorithmE2EiEvPT3_S3_i ; -- Begin function _Z25warp_store_guarded_kernelILj1024ELj4ELj16ELN6hipcub18WarpStoreAlgorithmE2EiEvPT3_S3_i
	.globl	_Z25warp_store_guarded_kernelILj1024ELj4ELj16ELN6hipcub18WarpStoreAlgorithmE2EiEvPT3_S3_i
	.p2align	8
	.type	_Z25warp_store_guarded_kernelILj1024ELj4ELj16ELN6hipcub18WarpStoreAlgorithmE2EiEvPT3_S3_i,@function
_Z25warp_store_guarded_kernelILj1024ELj4ELj16ELN6hipcub18WarpStoreAlgorithmE2EiEvPT3_S3_i: ; @_Z25warp_store_guarded_kernelILj1024ELj4ELj16ELN6hipcub18WarpStoreAlgorithmE2EiEvPT3_S3_i
; %bb.0:
	s_load_b128 s[4:7], s[0:1], 0x0
	v_mbcnt_lo_u32_b32 v3, -1, 0
	v_lshlrev_b32_e32 v6, 4, v0
	s_wait_xcnt 0x0
	s_load_b32 s0, s[0:1], 0x10
	s_wait_xcnt 0x0
	s_mov_b32 s1, exec_lo
	v_dual_lshlrev_b32 v3, 2, v3 :: v_dual_mov_b32 v9, 0
	v_and_b32_e32 v8, 0x3f00, v6
	s_delay_alu instid0(VALU_DEP_2) | instskip(SKIP_4) | instid1(VALU_DEP_1)
	v_and_b32_e32 v3, 60, v3
	s_wait_kmcnt 0x0
	global_load_b96 v[0:2], v6, s[4:5] offset:4
	v_add_nc_u64_e32 v[4:5], s[6:7], v[8:9]
	v_lshlrev_b32_e32 v8, 2, v3
	v_add_nc_u64_e32 v[4:5], v[4:5], v[8:9]
	s_wait_xcnt 0x0
	v_cmpx_gt_u32_e64 s0, v3
	s_cbranch_execz .LBB25_2
; %bb.1:
	v_mov_b32_e32 v7, v9
	s_delay_alu instid0(VALU_DEP_1)
	v_add_nc_u64_e32 v[6:7], s[4:5], v[6:7]
	global_load_b32 v6, v[6:7], off
	s_wait_loadcnt 0x0
	global_store_b32 v[4:5], v6, off
.LBB25_2:
	s_wait_xcnt 0x0
	s_or_b32 exec_lo, exec_lo, s1
	v_or_b32_e32 v6, 1, v3
	s_mov_b32 s1, exec_lo
	s_delay_alu instid0(VALU_DEP_1)
	v_cmpx_gt_u32_e64 s0, v6
	s_cbranch_execz .LBB25_4
; %bb.3:
	s_wait_loadcnt 0x0
	global_store_b32 v[4:5], v0, off offset:4
.LBB25_4:
	s_wait_xcnt 0x0
	s_or_b32 exec_lo, exec_lo, s1
	s_wait_loadcnt 0x0
	v_or_b32_e32 v0, 2, v3
	s_mov_b32 s1, exec_lo
	s_delay_alu instid0(VALU_DEP_1)
	v_cmpx_gt_u32_e64 s0, v0
	s_cbranch_execz .LBB25_6
; %bb.5:
	global_store_b32 v[4:5], v1, off offset:8
.LBB25_6:
	s_wait_xcnt 0x0
	s_or_b32 exec_lo, exec_lo, s1
	v_or_b32_e32 v0, 3, v3
	s_delay_alu instid0(VALU_DEP_1)
	v_cmp_gt_u32_e32 vcc_lo, s0, v0
	s_and_saveexec_b32 s0, vcc_lo
	s_cbranch_execz .LBB25_8
; %bb.7:
	global_store_b32 v[4:5], v2, off offset:12
.LBB25_8:
	s_endpgm
	.section	.rodata,"a",@progbits
	.p2align	6, 0x0
	.amdhsa_kernel _Z25warp_store_guarded_kernelILj1024ELj4ELj16ELN6hipcub18WarpStoreAlgorithmE2EiEvPT3_S3_i
		.amdhsa_group_segment_fixed_size 0
		.amdhsa_private_segment_fixed_size 0
		.amdhsa_kernarg_size 20
		.amdhsa_user_sgpr_count 2
		.amdhsa_user_sgpr_dispatch_ptr 0
		.amdhsa_user_sgpr_queue_ptr 0
		.amdhsa_user_sgpr_kernarg_segment_ptr 1
		.amdhsa_user_sgpr_dispatch_id 0
		.amdhsa_user_sgpr_kernarg_preload_length 0
		.amdhsa_user_sgpr_kernarg_preload_offset 0
		.amdhsa_user_sgpr_private_segment_size 0
		.amdhsa_wavefront_size32 1
		.amdhsa_uses_dynamic_stack 0
		.amdhsa_enable_private_segment 0
		.amdhsa_system_sgpr_workgroup_id_x 1
		.amdhsa_system_sgpr_workgroup_id_y 0
		.amdhsa_system_sgpr_workgroup_id_z 0
		.amdhsa_system_sgpr_workgroup_info 0
		.amdhsa_system_vgpr_workitem_id 0
		.amdhsa_next_free_vgpr 10
		.amdhsa_next_free_sgpr 8
		.amdhsa_named_barrier_count 0
		.amdhsa_reserve_vcc 1
		.amdhsa_float_round_mode_32 0
		.amdhsa_float_round_mode_16_64 0
		.amdhsa_float_denorm_mode_32 3
		.amdhsa_float_denorm_mode_16_64 3
		.amdhsa_fp16_overflow 0
		.amdhsa_memory_ordered 1
		.amdhsa_forward_progress 1
		.amdhsa_inst_pref_size 3
		.amdhsa_round_robin_scheduling 0
		.amdhsa_exception_fp_ieee_invalid_op 0
		.amdhsa_exception_fp_denorm_src 0
		.amdhsa_exception_fp_ieee_div_zero 0
		.amdhsa_exception_fp_ieee_overflow 0
		.amdhsa_exception_fp_ieee_underflow 0
		.amdhsa_exception_fp_ieee_inexact 0
		.amdhsa_exception_int_div_zero 0
	.end_amdhsa_kernel
	.section	.text._Z25warp_store_guarded_kernelILj1024ELj4ELj16ELN6hipcub18WarpStoreAlgorithmE2EiEvPT3_S3_i,"axG",@progbits,_Z25warp_store_guarded_kernelILj1024ELj4ELj16ELN6hipcub18WarpStoreAlgorithmE2EiEvPT3_S3_i,comdat
.Lfunc_end25:
	.size	_Z25warp_store_guarded_kernelILj1024ELj4ELj16ELN6hipcub18WarpStoreAlgorithmE2EiEvPT3_S3_i, .Lfunc_end25-_Z25warp_store_guarded_kernelILj1024ELj4ELj16ELN6hipcub18WarpStoreAlgorithmE2EiEvPT3_S3_i
                                        ; -- End function
	.set _Z25warp_store_guarded_kernelILj1024ELj4ELj16ELN6hipcub18WarpStoreAlgorithmE2EiEvPT3_S3_i.num_vgpr, 10
	.set _Z25warp_store_guarded_kernelILj1024ELj4ELj16ELN6hipcub18WarpStoreAlgorithmE2EiEvPT3_S3_i.num_agpr, 0
	.set _Z25warp_store_guarded_kernelILj1024ELj4ELj16ELN6hipcub18WarpStoreAlgorithmE2EiEvPT3_S3_i.numbered_sgpr, 8
	.set _Z25warp_store_guarded_kernelILj1024ELj4ELj16ELN6hipcub18WarpStoreAlgorithmE2EiEvPT3_S3_i.num_named_barrier, 0
	.set _Z25warp_store_guarded_kernelILj1024ELj4ELj16ELN6hipcub18WarpStoreAlgorithmE2EiEvPT3_S3_i.private_seg_size, 0
	.set _Z25warp_store_guarded_kernelILj1024ELj4ELj16ELN6hipcub18WarpStoreAlgorithmE2EiEvPT3_S3_i.uses_vcc, 1
	.set _Z25warp_store_guarded_kernelILj1024ELj4ELj16ELN6hipcub18WarpStoreAlgorithmE2EiEvPT3_S3_i.uses_flat_scratch, 0
	.set _Z25warp_store_guarded_kernelILj1024ELj4ELj16ELN6hipcub18WarpStoreAlgorithmE2EiEvPT3_S3_i.has_dyn_sized_stack, 0
	.set _Z25warp_store_guarded_kernelILj1024ELj4ELj16ELN6hipcub18WarpStoreAlgorithmE2EiEvPT3_S3_i.has_recursion, 0
	.set _Z25warp_store_guarded_kernelILj1024ELj4ELj16ELN6hipcub18WarpStoreAlgorithmE2EiEvPT3_S3_i.has_indirect_call, 0
	.section	.AMDGPU.csdata,"",@progbits
; Kernel info:
; codeLenInByte = 292
; TotalNumSgprs: 10
; NumVgprs: 10
; ScratchSize: 0
; MemoryBound: 0
; FloatMode: 240
; IeeeMode: 1
; LDSByteSize: 0 bytes/workgroup (compile time only)
; SGPRBlocks: 0
; VGPRBlocks: 0
; NumSGPRsForWavesPerEU: 10
; NumVGPRsForWavesPerEU: 10
; NamedBarCnt: 0
; Occupancy: 16
; WaveLimiterHint : 0
; COMPUTE_PGM_RSRC2:SCRATCH_EN: 0
; COMPUTE_PGM_RSRC2:USER_SGPR: 2
; COMPUTE_PGM_RSRC2:TRAP_HANDLER: 0
; COMPUTE_PGM_RSRC2:TGID_X_EN: 1
; COMPUTE_PGM_RSRC2:TGID_Y_EN: 0
; COMPUTE_PGM_RSRC2:TGID_Z_EN: 0
; COMPUTE_PGM_RSRC2:TIDIG_COMP_CNT: 0
	.section	.text._Z25warp_store_guarded_kernelILj1024ELj4ELj16ELN6hipcub18WarpStoreAlgorithmE1EiEvPT3_S3_i,"axG",@progbits,_Z25warp_store_guarded_kernelILj1024ELj4ELj16ELN6hipcub18WarpStoreAlgorithmE1EiEvPT3_S3_i,comdat
	.protected	_Z25warp_store_guarded_kernelILj1024ELj4ELj16ELN6hipcub18WarpStoreAlgorithmE1EiEvPT3_S3_i ; -- Begin function _Z25warp_store_guarded_kernelILj1024ELj4ELj16ELN6hipcub18WarpStoreAlgorithmE1EiEvPT3_S3_i
	.globl	_Z25warp_store_guarded_kernelILj1024ELj4ELj16ELN6hipcub18WarpStoreAlgorithmE1EiEvPT3_S3_i
	.p2align	8
	.type	_Z25warp_store_guarded_kernelILj1024ELj4ELj16ELN6hipcub18WarpStoreAlgorithmE1EiEvPT3_S3_i,@function
_Z25warp_store_guarded_kernelILj1024ELj4ELj16ELN6hipcub18WarpStoreAlgorithmE1EiEvPT3_S3_i: ; @_Z25warp_store_guarded_kernelILj1024ELj4ELj16ELN6hipcub18WarpStoreAlgorithmE1EiEvPT3_S3_i
; %bb.0:
	s_load_b128 s[4:7], s[0:1], 0x0
	v_dual_mov_b32 v9, 0 :: v_dual_lshlrev_b32 v6, 4, v0
	v_mbcnt_lo_u32_b32 v3, -1, 0
	s_wait_xcnt 0x0
	s_load_b32 s0, s[0:1], 0x10
	s_wait_xcnt 0x0
	s_mov_b32 s1, exec_lo
	v_and_b32_e32 v8, 0x3f00, v6
	v_and_b32_e32 v3, 15, v3
	s_wait_kmcnt 0x0
	global_load_b96 v[0:2], v6, s[4:5] offset:4
	v_add_nc_u64_e32 v[4:5], s[6:7], v[8:9]
	v_lshlrev_b32_e32 v8, 2, v3
	s_delay_alu instid0(VALU_DEP_1)
	v_add_nc_u64_e32 v[4:5], v[4:5], v[8:9]
	s_wait_xcnt 0x0
	v_cmpx_gt_u32_e64 s0, v3
	s_cbranch_execz .LBB26_2
; %bb.1:
	v_mov_b32_e32 v7, v9
	s_delay_alu instid0(VALU_DEP_1)
	v_add_nc_u64_e32 v[6:7], s[4:5], v[6:7]
	global_load_b32 v6, v[6:7], off
	s_wait_loadcnt 0x0
	global_store_b32 v[4:5], v6, off
.LBB26_2:
	s_wait_xcnt 0x0
	s_or_b32 exec_lo, exec_lo, s1
	v_or_b32_e32 v6, 16, v3
	s_mov_b32 s1, exec_lo
	s_delay_alu instid0(VALU_DEP_1)
	v_cmpx_gt_u32_e64 s0, v6
	s_cbranch_execz .LBB26_4
; %bb.3:
	s_wait_loadcnt 0x0
	global_store_b32 v[4:5], v0, off offset:64
.LBB26_4:
	s_wait_xcnt 0x0
	s_or_b32 exec_lo, exec_lo, s1
	s_wait_loadcnt 0x0
	v_or_b32_e32 v0, 32, v3
	s_mov_b32 s1, exec_lo
	s_delay_alu instid0(VALU_DEP_1)
	v_cmpx_gt_u32_e64 s0, v0
	s_cbranch_execz .LBB26_6
; %bb.5:
	global_store_b32 v[4:5], v1, off offset:128
.LBB26_6:
	s_wait_xcnt 0x0
	s_or_b32 exec_lo, exec_lo, s1
	v_or_b32_e32 v0, 48, v3
	s_delay_alu instid0(VALU_DEP_1)
	v_cmp_gt_u32_e32 vcc_lo, s0, v0
	s_and_saveexec_b32 s0, vcc_lo
	s_cbranch_execz .LBB26_8
; %bb.7:
	global_store_b32 v[4:5], v2, off offset:192
.LBB26_8:
	s_endpgm
	.section	.rodata,"a",@progbits
	.p2align	6, 0x0
	.amdhsa_kernel _Z25warp_store_guarded_kernelILj1024ELj4ELj16ELN6hipcub18WarpStoreAlgorithmE1EiEvPT3_S3_i
		.amdhsa_group_segment_fixed_size 0
		.amdhsa_private_segment_fixed_size 0
		.amdhsa_kernarg_size 20
		.amdhsa_user_sgpr_count 2
		.amdhsa_user_sgpr_dispatch_ptr 0
		.amdhsa_user_sgpr_queue_ptr 0
		.amdhsa_user_sgpr_kernarg_segment_ptr 1
		.amdhsa_user_sgpr_dispatch_id 0
		.amdhsa_user_sgpr_kernarg_preload_length 0
		.amdhsa_user_sgpr_kernarg_preload_offset 0
		.amdhsa_user_sgpr_private_segment_size 0
		.amdhsa_wavefront_size32 1
		.amdhsa_uses_dynamic_stack 0
		.amdhsa_enable_private_segment 0
		.amdhsa_system_sgpr_workgroup_id_x 1
		.amdhsa_system_sgpr_workgroup_id_y 0
		.amdhsa_system_sgpr_workgroup_id_z 0
		.amdhsa_system_sgpr_workgroup_info 0
		.amdhsa_system_vgpr_workitem_id 0
		.amdhsa_next_free_vgpr 10
		.amdhsa_next_free_sgpr 8
		.amdhsa_named_barrier_count 0
		.amdhsa_reserve_vcc 1
		.amdhsa_float_round_mode_32 0
		.amdhsa_float_round_mode_16_64 0
		.amdhsa_float_denorm_mode_32 3
		.amdhsa_float_denorm_mode_16_64 3
		.amdhsa_fp16_overflow 0
		.amdhsa_memory_ordered 1
		.amdhsa_forward_progress 1
		.amdhsa_inst_pref_size 3
		.amdhsa_round_robin_scheduling 0
		.amdhsa_exception_fp_ieee_invalid_op 0
		.amdhsa_exception_fp_denorm_src 0
		.amdhsa_exception_fp_ieee_div_zero 0
		.amdhsa_exception_fp_ieee_overflow 0
		.amdhsa_exception_fp_ieee_underflow 0
		.amdhsa_exception_fp_ieee_inexact 0
		.amdhsa_exception_int_div_zero 0
	.end_amdhsa_kernel
	.section	.text._Z25warp_store_guarded_kernelILj1024ELj4ELj16ELN6hipcub18WarpStoreAlgorithmE1EiEvPT3_S3_i,"axG",@progbits,_Z25warp_store_guarded_kernelILj1024ELj4ELj16ELN6hipcub18WarpStoreAlgorithmE1EiEvPT3_S3_i,comdat
.Lfunc_end26:
	.size	_Z25warp_store_guarded_kernelILj1024ELj4ELj16ELN6hipcub18WarpStoreAlgorithmE1EiEvPT3_S3_i, .Lfunc_end26-_Z25warp_store_guarded_kernelILj1024ELj4ELj16ELN6hipcub18WarpStoreAlgorithmE1EiEvPT3_S3_i
                                        ; -- End function
	.set _Z25warp_store_guarded_kernelILj1024ELj4ELj16ELN6hipcub18WarpStoreAlgorithmE1EiEvPT3_S3_i.num_vgpr, 10
	.set _Z25warp_store_guarded_kernelILj1024ELj4ELj16ELN6hipcub18WarpStoreAlgorithmE1EiEvPT3_S3_i.num_agpr, 0
	.set _Z25warp_store_guarded_kernelILj1024ELj4ELj16ELN6hipcub18WarpStoreAlgorithmE1EiEvPT3_S3_i.numbered_sgpr, 8
	.set _Z25warp_store_guarded_kernelILj1024ELj4ELj16ELN6hipcub18WarpStoreAlgorithmE1EiEvPT3_S3_i.num_named_barrier, 0
	.set _Z25warp_store_guarded_kernelILj1024ELj4ELj16ELN6hipcub18WarpStoreAlgorithmE1EiEvPT3_S3_i.private_seg_size, 0
	.set _Z25warp_store_guarded_kernelILj1024ELj4ELj16ELN6hipcub18WarpStoreAlgorithmE1EiEvPT3_S3_i.uses_vcc, 1
	.set _Z25warp_store_guarded_kernelILj1024ELj4ELj16ELN6hipcub18WarpStoreAlgorithmE1EiEvPT3_S3_i.uses_flat_scratch, 0
	.set _Z25warp_store_guarded_kernelILj1024ELj4ELj16ELN6hipcub18WarpStoreAlgorithmE1EiEvPT3_S3_i.has_dyn_sized_stack, 0
	.set _Z25warp_store_guarded_kernelILj1024ELj4ELj16ELN6hipcub18WarpStoreAlgorithmE1EiEvPT3_S3_i.has_recursion, 0
	.set _Z25warp_store_guarded_kernelILj1024ELj4ELj16ELN6hipcub18WarpStoreAlgorithmE1EiEvPT3_S3_i.has_indirect_call, 0
	.section	.AMDGPU.csdata,"",@progbits
; Kernel info:
; codeLenInByte = 284
; TotalNumSgprs: 10
; NumVgprs: 10
; ScratchSize: 0
; MemoryBound: 0
; FloatMode: 240
; IeeeMode: 1
; LDSByteSize: 0 bytes/workgroup (compile time only)
; SGPRBlocks: 0
; VGPRBlocks: 0
; NumSGPRsForWavesPerEU: 10
; NumVGPRsForWavesPerEU: 10
; NamedBarCnt: 0
; Occupancy: 16
; WaveLimiterHint : 0
; COMPUTE_PGM_RSRC2:SCRATCH_EN: 0
; COMPUTE_PGM_RSRC2:USER_SGPR: 2
; COMPUTE_PGM_RSRC2:TRAP_HANDLER: 0
; COMPUTE_PGM_RSRC2:TGID_X_EN: 1
; COMPUTE_PGM_RSRC2:TGID_Y_EN: 0
; COMPUTE_PGM_RSRC2:TGID_Z_EN: 0
; COMPUTE_PGM_RSRC2:TIDIG_COMP_CNT: 0
	.section	.text._Z25warp_store_guarded_kernelILj1024ELj4ELj16ELN6hipcub18WarpStoreAlgorithmE0EiEvPT3_S3_i,"axG",@progbits,_Z25warp_store_guarded_kernelILj1024ELj4ELj16ELN6hipcub18WarpStoreAlgorithmE0EiEvPT3_S3_i,comdat
	.protected	_Z25warp_store_guarded_kernelILj1024ELj4ELj16ELN6hipcub18WarpStoreAlgorithmE0EiEvPT3_S3_i ; -- Begin function _Z25warp_store_guarded_kernelILj1024ELj4ELj16ELN6hipcub18WarpStoreAlgorithmE0EiEvPT3_S3_i
	.globl	_Z25warp_store_guarded_kernelILj1024ELj4ELj16ELN6hipcub18WarpStoreAlgorithmE0EiEvPT3_S3_i
	.p2align	8
	.type	_Z25warp_store_guarded_kernelILj1024ELj4ELj16ELN6hipcub18WarpStoreAlgorithmE0EiEvPT3_S3_i,@function
_Z25warp_store_guarded_kernelILj1024ELj4ELj16ELN6hipcub18WarpStoreAlgorithmE0EiEvPT3_S3_i: ; @_Z25warp_store_guarded_kernelILj1024ELj4ELj16ELN6hipcub18WarpStoreAlgorithmE0EiEvPT3_S3_i
; %bb.0:
	s_load_b128 s[4:7], s[0:1], 0x0
	v_mbcnt_lo_u32_b32 v3, -1, 0
	v_lshlrev_b32_e32 v6, 4, v0
	s_wait_xcnt 0x0
	s_load_b32 s0, s[0:1], 0x10
	s_wait_xcnt 0x0
	s_mov_b32 s1, exec_lo
	v_dual_lshlrev_b32 v3, 2, v3 :: v_dual_mov_b32 v9, 0
	v_and_b32_e32 v8, 0x3f00, v6
	s_delay_alu instid0(VALU_DEP_2) | instskip(SKIP_4) | instid1(VALU_DEP_1)
	v_and_b32_e32 v3, 60, v3
	s_wait_kmcnt 0x0
	global_load_b96 v[0:2], v6, s[4:5] offset:4
	v_add_nc_u64_e32 v[4:5], s[6:7], v[8:9]
	v_lshlrev_b32_e32 v8, 2, v3
	v_add_nc_u64_e32 v[4:5], v[4:5], v[8:9]
	s_wait_xcnt 0x0
	v_cmpx_gt_u32_e64 s0, v3
	s_cbranch_execz .LBB27_2
; %bb.1:
	v_mov_b32_e32 v7, v9
	s_delay_alu instid0(VALU_DEP_1)
	v_add_nc_u64_e32 v[6:7], s[4:5], v[6:7]
	global_load_b32 v6, v[6:7], off
	s_wait_loadcnt 0x0
	global_store_b32 v[4:5], v6, off
.LBB27_2:
	s_wait_xcnt 0x0
	s_or_b32 exec_lo, exec_lo, s1
	v_or_b32_e32 v6, 1, v3
	s_mov_b32 s1, exec_lo
	s_delay_alu instid0(VALU_DEP_1)
	v_cmpx_gt_u32_e64 s0, v6
	s_cbranch_execz .LBB27_4
; %bb.3:
	s_wait_loadcnt 0x0
	global_store_b32 v[4:5], v0, off offset:4
.LBB27_4:
	s_wait_xcnt 0x0
	s_or_b32 exec_lo, exec_lo, s1
	s_wait_loadcnt 0x0
	v_or_b32_e32 v0, 2, v3
	s_mov_b32 s1, exec_lo
	s_delay_alu instid0(VALU_DEP_1)
	v_cmpx_gt_u32_e64 s0, v0
	s_cbranch_execz .LBB27_6
; %bb.5:
	global_store_b32 v[4:5], v1, off offset:8
.LBB27_6:
	s_wait_xcnt 0x0
	s_or_b32 exec_lo, exec_lo, s1
	v_or_b32_e32 v0, 3, v3
	s_delay_alu instid0(VALU_DEP_1)
	v_cmp_gt_u32_e32 vcc_lo, s0, v0
	s_and_saveexec_b32 s0, vcc_lo
	s_cbranch_execz .LBB27_8
; %bb.7:
	global_store_b32 v[4:5], v2, off offset:12
.LBB27_8:
	s_endpgm
	.section	.rodata,"a",@progbits
	.p2align	6, 0x0
	.amdhsa_kernel _Z25warp_store_guarded_kernelILj1024ELj4ELj16ELN6hipcub18WarpStoreAlgorithmE0EiEvPT3_S3_i
		.amdhsa_group_segment_fixed_size 0
		.amdhsa_private_segment_fixed_size 0
		.amdhsa_kernarg_size 20
		.amdhsa_user_sgpr_count 2
		.amdhsa_user_sgpr_dispatch_ptr 0
		.amdhsa_user_sgpr_queue_ptr 0
		.amdhsa_user_sgpr_kernarg_segment_ptr 1
		.amdhsa_user_sgpr_dispatch_id 0
		.amdhsa_user_sgpr_kernarg_preload_length 0
		.amdhsa_user_sgpr_kernarg_preload_offset 0
		.amdhsa_user_sgpr_private_segment_size 0
		.amdhsa_wavefront_size32 1
		.amdhsa_uses_dynamic_stack 0
		.amdhsa_enable_private_segment 0
		.amdhsa_system_sgpr_workgroup_id_x 1
		.amdhsa_system_sgpr_workgroup_id_y 0
		.amdhsa_system_sgpr_workgroup_id_z 0
		.amdhsa_system_sgpr_workgroup_info 0
		.amdhsa_system_vgpr_workitem_id 0
		.amdhsa_next_free_vgpr 10
		.amdhsa_next_free_sgpr 8
		.amdhsa_named_barrier_count 0
		.amdhsa_reserve_vcc 1
		.amdhsa_float_round_mode_32 0
		.amdhsa_float_round_mode_16_64 0
		.amdhsa_float_denorm_mode_32 3
		.amdhsa_float_denorm_mode_16_64 3
		.amdhsa_fp16_overflow 0
		.amdhsa_memory_ordered 1
		.amdhsa_forward_progress 1
		.amdhsa_inst_pref_size 3
		.amdhsa_round_robin_scheduling 0
		.amdhsa_exception_fp_ieee_invalid_op 0
		.amdhsa_exception_fp_denorm_src 0
		.amdhsa_exception_fp_ieee_div_zero 0
		.amdhsa_exception_fp_ieee_overflow 0
		.amdhsa_exception_fp_ieee_underflow 0
		.amdhsa_exception_fp_ieee_inexact 0
		.amdhsa_exception_int_div_zero 0
	.end_amdhsa_kernel
	.section	.text._Z25warp_store_guarded_kernelILj1024ELj4ELj16ELN6hipcub18WarpStoreAlgorithmE0EiEvPT3_S3_i,"axG",@progbits,_Z25warp_store_guarded_kernelILj1024ELj4ELj16ELN6hipcub18WarpStoreAlgorithmE0EiEvPT3_S3_i,comdat
.Lfunc_end27:
	.size	_Z25warp_store_guarded_kernelILj1024ELj4ELj16ELN6hipcub18WarpStoreAlgorithmE0EiEvPT3_S3_i, .Lfunc_end27-_Z25warp_store_guarded_kernelILj1024ELj4ELj16ELN6hipcub18WarpStoreAlgorithmE0EiEvPT3_S3_i
                                        ; -- End function
	.set _Z25warp_store_guarded_kernelILj1024ELj4ELj16ELN6hipcub18WarpStoreAlgorithmE0EiEvPT3_S3_i.num_vgpr, 10
	.set _Z25warp_store_guarded_kernelILj1024ELj4ELj16ELN6hipcub18WarpStoreAlgorithmE0EiEvPT3_S3_i.num_agpr, 0
	.set _Z25warp_store_guarded_kernelILj1024ELj4ELj16ELN6hipcub18WarpStoreAlgorithmE0EiEvPT3_S3_i.numbered_sgpr, 8
	.set _Z25warp_store_guarded_kernelILj1024ELj4ELj16ELN6hipcub18WarpStoreAlgorithmE0EiEvPT3_S3_i.num_named_barrier, 0
	.set _Z25warp_store_guarded_kernelILj1024ELj4ELj16ELN6hipcub18WarpStoreAlgorithmE0EiEvPT3_S3_i.private_seg_size, 0
	.set _Z25warp_store_guarded_kernelILj1024ELj4ELj16ELN6hipcub18WarpStoreAlgorithmE0EiEvPT3_S3_i.uses_vcc, 1
	.set _Z25warp_store_guarded_kernelILj1024ELj4ELj16ELN6hipcub18WarpStoreAlgorithmE0EiEvPT3_S3_i.uses_flat_scratch, 0
	.set _Z25warp_store_guarded_kernelILj1024ELj4ELj16ELN6hipcub18WarpStoreAlgorithmE0EiEvPT3_S3_i.has_dyn_sized_stack, 0
	.set _Z25warp_store_guarded_kernelILj1024ELj4ELj16ELN6hipcub18WarpStoreAlgorithmE0EiEvPT3_S3_i.has_recursion, 0
	.set _Z25warp_store_guarded_kernelILj1024ELj4ELj16ELN6hipcub18WarpStoreAlgorithmE0EiEvPT3_S3_i.has_indirect_call, 0
	.section	.AMDGPU.csdata,"",@progbits
; Kernel info:
; codeLenInByte = 292
; TotalNumSgprs: 10
; NumVgprs: 10
; ScratchSize: 0
; MemoryBound: 0
; FloatMode: 240
; IeeeMode: 1
; LDSByteSize: 0 bytes/workgroup (compile time only)
; SGPRBlocks: 0
; VGPRBlocks: 0
; NumSGPRsForWavesPerEU: 10
; NumVGPRsForWavesPerEU: 10
; NamedBarCnt: 0
; Occupancy: 16
; WaveLimiterHint : 0
; COMPUTE_PGM_RSRC2:SCRATCH_EN: 0
; COMPUTE_PGM_RSRC2:USER_SGPR: 2
; COMPUTE_PGM_RSRC2:TRAP_HANDLER: 0
; COMPUTE_PGM_RSRC2:TGID_X_EN: 1
; COMPUTE_PGM_RSRC2:TGID_Y_EN: 0
; COMPUTE_PGM_RSRC2:TGID_Z_EN: 0
; COMPUTE_PGM_RSRC2:TIDIG_COMP_CNT: 0
	.section	.text._Z25warp_store_guarded_kernelILj1024ELj4ELj1ELN6hipcub18WarpStoreAlgorithmE3EiEvPT3_S3_i,"axG",@progbits,_Z25warp_store_guarded_kernelILj1024ELj4ELj1ELN6hipcub18WarpStoreAlgorithmE3EiEvPT3_S3_i,comdat
	.protected	_Z25warp_store_guarded_kernelILj1024ELj4ELj1ELN6hipcub18WarpStoreAlgorithmE3EiEvPT3_S3_i ; -- Begin function _Z25warp_store_guarded_kernelILj1024ELj4ELj1ELN6hipcub18WarpStoreAlgorithmE3EiEvPT3_S3_i
	.globl	_Z25warp_store_guarded_kernelILj1024ELj4ELj1ELN6hipcub18WarpStoreAlgorithmE3EiEvPT3_S3_i
	.p2align	8
	.type	_Z25warp_store_guarded_kernelILj1024ELj4ELj1ELN6hipcub18WarpStoreAlgorithmE3EiEvPT3_S3_i,@function
_Z25warp_store_guarded_kernelILj1024ELj4ELj1ELN6hipcub18WarpStoreAlgorithmE3EiEvPT3_S3_i: ; @_Z25warp_store_guarded_kernelILj1024ELj4ELj1ELN6hipcub18WarpStoreAlgorithmE3EiEvPT3_S3_i
; %bb.0:
	s_clause 0x1
	s_load_b128 s[4:7], s[0:1], 0x0
	s_load_b32 s2, s[0:1], 0x10
	v_mov_b32_e32 v1, 0
	s_wait_kmcnt 0x0
	global_load_b128 v[4:7], v0, s[4:5] scale_offset
	s_wait_xcnt 0x0
	v_lshlrev_b32_e32 v0, 4, v0
	s_cmp_eq_u32 s2, 0
	s_delay_alu instid0(VALU_DEP_1)
	v_add_nc_u64_e32 v[2:3], s[6:7], v[0:1]
	s_wait_loadcnt 0x0
	ds_store_b128 v0, v[4:7]
	; wave barrier
	s_cbranch_scc1 .LBB28_2
; %bb.1:
	ds_load_b32 v1, v0
	s_wait_dscnt 0x0
	global_store_b32 v[2:3], v1, off
.LBB28_2:
	ds_load_2addr_b32 v[4:5], v0 offset0:1 offset1:2
	s_cmp_lt_u32 s2, 2
	s_cbranch_scc0 .LBB28_6
; %bb.3:
	s_cmp_lt_u32 s2, 3
	s_cbranch_scc0 .LBB28_7
.LBB28_4:
	s_cmp_lt_u32 s2, 4
	s_cbranch_scc0 .LBB28_8
.LBB28_5:
	s_endpgm
.LBB28_6:
	s_wait_dscnt 0x0
	global_store_b32 v[2:3], v4, off offset:4
	s_cmp_lt_u32 s2, 3
	s_cbranch_scc1 .LBB28_4
.LBB28_7:
	s_wait_dscnt 0x0
	global_store_b32 v[2:3], v5, off offset:8
	s_cmp_lt_u32 s2, 4
	s_cbranch_scc1 .LBB28_5
.LBB28_8:
	ds_load_b32 v0, v0 offset:12
	s_wait_dscnt 0x0
	global_store_b32 v[2:3], v0, off offset:12
	s_endpgm
	.section	.rodata,"a",@progbits
	.p2align	6, 0x0
	.amdhsa_kernel _Z25warp_store_guarded_kernelILj1024ELj4ELj1ELN6hipcub18WarpStoreAlgorithmE3EiEvPT3_S3_i
		.amdhsa_group_segment_fixed_size 16384
		.amdhsa_private_segment_fixed_size 0
		.amdhsa_kernarg_size 20
		.amdhsa_user_sgpr_count 2
		.amdhsa_user_sgpr_dispatch_ptr 0
		.amdhsa_user_sgpr_queue_ptr 0
		.amdhsa_user_sgpr_kernarg_segment_ptr 1
		.amdhsa_user_sgpr_dispatch_id 0
		.amdhsa_user_sgpr_kernarg_preload_length 0
		.amdhsa_user_sgpr_kernarg_preload_offset 0
		.amdhsa_user_sgpr_private_segment_size 0
		.amdhsa_wavefront_size32 1
		.amdhsa_uses_dynamic_stack 0
		.amdhsa_enable_private_segment 0
		.amdhsa_system_sgpr_workgroup_id_x 1
		.amdhsa_system_sgpr_workgroup_id_y 0
		.amdhsa_system_sgpr_workgroup_id_z 0
		.amdhsa_system_sgpr_workgroup_info 0
		.amdhsa_system_vgpr_workitem_id 0
		.amdhsa_next_free_vgpr 8
		.amdhsa_next_free_sgpr 8
		.amdhsa_named_barrier_count 0
		.amdhsa_reserve_vcc 0
		.amdhsa_float_round_mode_32 0
		.amdhsa_float_round_mode_16_64 0
		.amdhsa_float_denorm_mode_32 3
		.amdhsa_float_denorm_mode_16_64 3
		.amdhsa_fp16_overflow 0
		.amdhsa_memory_ordered 1
		.amdhsa_forward_progress 1
		.amdhsa_inst_pref_size 2
		.amdhsa_round_robin_scheduling 0
		.amdhsa_exception_fp_ieee_invalid_op 0
		.amdhsa_exception_fp_denorm_src 0
		.amdhsa_exception_fp_ieee_div_zero 0
		.amdhsa_exception_fp_ieee_overflow 0
		.amdhsa_exception_fp_ieee_underflow 0
		.amdhsa_exception_fp_ieee_inexact 0
		.amdhsa_exception_int_div_zero 0
	.end_amdhsa_kernel
	.section	.text._Z25warp_store_guarded_kernelILj1024ELj4ELj1ELN6hipcub18WarpStoreAlgorithmE3EiEvPT3_S3_i,"axG",@progbits,_Z25warp_store_guarded_kernelILj1024ELj4ELj1ELN6hipcub18WarpStoreAlgorithmE3EiEvPT3_S3_i,comdat
.Lfunc_end28:
	.size	_Z25warp_store_guarded_kernelILj1024ELj4ELj1ELN6hipcub18WarpStoreAlgorithmE3EiEvPT3_S3_i, .Lfunc_end28-_Z25warp_store_guarded_kernelILj1024ELj4ELj1ELN6hipcub18WarpStoreAlgorithmE3EiEvPT3_S3_i
                                        ; -- End function
	.set _Z25warp_store_guarded_kernelILj1024ELj4ELj1ELN6hipcub18WarpStoreAlgorithmE3EiEvPT3_S3_i.num_vgpr, 8
	.set _Z25warp_store_guarded_kernelILj1024ELj4ELj1ELN6hipcub18WarpStoreAlgorithmE3EiEvPT3_S3_i.num_agpr, 0
	.set _Z25warp_store_guarded_kernelILj1024ELj4ELj1ELN6hipcub18WarpStoreAlgorithmE3EiEvPT3_S3_i.numbered_sgpr, 8
	.set _Z25warp_store_guarded_kernelILj1024ELj4ELj1ELN6hipcub18WarpStoreAlgorithmE3EiEvPT3_S3_i.num_named_barrier, 0
	.set _Z25warp_store_guarded_kernelILj1024ELj4ELj1ELN6hipcub18WarpStoreAlgorithmE3EiEvPT3_S3_i.private_seg_size, 0
	.set _Z25warp_store_guarded_kernelILj1024ELj4ELj1ELN6hipcub18WarpStoreAlgorithmE3EiEvPT3_S3_i.uses_vcc, 0
	.set _Z25warp_store_guarded_kernelILj1024ELj4ELj1ELN6hipcub18WarpStoreAlgorithmE3EiEvPT3_S3_i.uses_flat_scratch, 0
	.set _Z25warp_store_guarded_kernelILj1024ELj4ELj1ELN6hipcub18WarpStoreAlgorithmE3EiEvPT3_S3_i.has_dyn_sized_stack, 0
	.set _Z25warp_store_guarded_kernelILj1024ELj4ELj1ELN6hipcub18WarpStoreAlgorithmE3EiEvPT3_S3_i.has_recursion, 0
	.set _Z25warp_store_guarded_kernelILj1024ELj4ELj1ELN6hipcub18WarpStoreAlgorithmE3EiEvPT3_S3_i.has_indirect_call, 0
	.section	.AMDGPU.csdata,"",@progbits
; Kernel info:
; codeLenInByte = 212
; TotalNumSgprs: 8
; NumVgprs: 8
; ScratchSize: 0
; MemoryBound: 0
; FloatMode: 240
; IeeeMode: 1
; LDSByteSize: 16384 bytes/workgroup (compile time only)
; SGPRBlocks: 0
; VGPRBlocks: 0
; NumSGPRsForWavesPerEU: 8
; NumVGPRsForWavesPerEU: 8
; NamedBarCnt: 0
; Occupancy: 16
; WaveLimiterHint : 0
; COMPUTE_PGM_RSRC2:SCRATCH_EN: 0
; COMPUTE_PGM_RSRC2:USER_SGPR: 2
; COMPUTE_PGM_RSRC2:TRAP_HANDLER: 0
; COMPUTE_PGM_RSRC2:TGID_X_EN: 1
; COMPUTE_PGM_RSRC2:TGID_Y_EN: 0
; COMPUTE_PGM_RSRC2:TGID_Z_EN: 0
; COMPUTE_PGM_RSRC2:TIDIG_COMP_CNT: 0
	.section	.text._Z25warp_store_guarded_kernelILj1024ELj4ELj1ELN6hipcub18WarpStoreAlgorithmE2EiEvPT3_S3_i,"axG",@progbits,_Z25warp_store_guarded_kernelILj1024ELj4ELj1ELN6hipcub18WarpStoreAlgorithmE2EiEvPT3_S3_i,comdat
	.protected	_Z25warp_store_guarded_kernelILj1024ELj4ELj1ELN6hipcub18WarpStoreAlgorithmE2EiEvPT3_S3_i ; -- Begin function _Z25warp_store_guarded_kernelILj1024ELj4ELj1ELN6hipcub18WarpStoreAlgorithmE2EiEvPT3_S3_i
	.globl	_Z25warp_store_guarded_kernelILj1024ELj4ELj1ELN6hipcub18WarpStoreAlgorithmE2EiEvPT3_S3_i
	.p2align	8
	.type	_Z25warp_store_guarded_kernelILj1024ELj4ELj1ELN6hipcub18WarpStoreAlgorithmE2EiEvPT3_S3_i,@function
_Z25warp_store_guarded_kernelILj1024ELj4ELj1ELN6hipcub18WarpStoreAlgorithmE2EiEvPT3_S3_i: ; @_Z25warp_store_guarded_kernelILj1024ELj4ELj1ELN6hipcub18WarpStoreAlgorithmE2EiEvPT3_S3_i
; %bb.0:
	s_load_b128 s[4:7], s[0:1], 0x0
	v_dual_mov_b32 v7, 0 :: v_dual_lshlrev_b32 v6, 4, v0
	s_wait_xcnt 0x0
	s_load_b32 s0, s[0:1], 0x10
	s_wait_kmcnt 0x0
	global_load_b96 v[0:2], v6, s[4:5] offset:4
	v_add_nc_u64_e32 v[4:5], s[6:7], v[6:7]
	s_cmp_eq_u32 s0, 0
	s_cbranch_scc1 .LBB29_2
; %bb.1:
	s_wait_xcnt 0x0
	v_add_nc_u64_e32 v[6:7], s[4:5], v[6:7]
	global_load_b32 v3, v[6:7], off
	s_wait_loadcnt 0x0
	global_store_b32 v[4:5], v3, off
.LBB29_2:
	s_cmp_lt_u32 s0, 2
	s_cbranch_scc0 .LBB29_6
; %bb.3:
	s_cmp_lt_u32 s0, 3
	s_cbranch_scc0 .LBB29_7
.LBB29_4:
	s_cmp_lt_u32 s0, 4
	s_cbranch_scc0 .LBB29_8
.LBB29_5:
	s_endpgm
.LBB29_6:
	s_wait_loadcnt 0x0
	global_store_b32 v[4:5], v0, off offset:4
	s_cmp_lt_u32 s0, 3
	s_cbranch_scc1 .LBB29_4
.LBB29_7:
	s_wait_loadcnt 0x0
	global_store_b32 v[4:5], v1, off offset:8
	s_cmp_lt_u32 s0, 4
	s_cbranch_scc1 .LBB29_5
.LBB29_8:
	s_wait_loadcnt 0x0
	global_store_b32 v[4:5], v2, off offset:12
	s_endpgm
	.section	.rodata,"a",@progbits
	.p2align	6, 0x0
	.amdhsa_kernel _Z25warp_store_guarded_kernelILj1024ELj4ELj1ELN6hipcub18WarpStoreAlgorithmE2EiEvPT3_S3_i
		.amdhsa_group_segment_fixed_size 0
		.amdhsa_private_segment_fixed_size 0
		.amdhsa_kernarg_size 20
		.amdhsa_user_sgpr_count 2
		.amdhsa_user_sgpr_dispatch_ptr 0
		.amdhsa_user_sgpr_queue_ptr 0
		.amdhsa_user_sgpr_kernarg_segment_ptr 1
		.amdhsa_user_sgpr_dispatch_id 0
		.amdhsa_user_sgpr_kernarg_preload_length 0
		.amdhsa_user_sgpr_kernarg_preload_offset 0
		.amdhsa_user_sgpr_private_segment_size 0
		.amdhsa_wavefront_size32 1
		.amdhsa_uses_dynamic_stack 0
		.amdhsa_enable_private_segment 0
		.amdhsa_system_sgpr_workgroup_id_x 1
		.amdhsa_system_sgpr_workgroup_id_y 0
		.amdhsa_system_sgpr_workgroup_id_z 0
		.amdhsa_system_sgpr_workgroup_info 0
		.amdhsa_system_vgpr_workitem_id 0
		.amdhsa_next_free_vgpr 8
		.amdhsa_next_free_sgpr 8
		.amdhsa_named_barrier_count 0
		.amdhsa_reserve_vcc 0
		.amdhsa_float_round_mode_32 0
		.amdhsa_float_round_mode_16_64 0
		.amdhsa_float_denorm_mode_32 3
		.amdhsa_float_denorm_mode_16_64 3
		.amdhsa_fp16_overflow 0
		.amdhsa_memory_ordered 1
		.amdhsa_forward_progress 1
		.amdhsa_inst_pref_size 2
		.amdhsa_round_robin_scheduling 0
		.amdhsa_exception_fp_ieee_invalid_op 0
		.amdhsa_exception_fp_denorm_src 0
		.amdhsa_exception_fp_ieee_div_zero 0
		.amdhsa_exception_fp_ieee_overflow 0
		.amdhsa_exception_fp_ieee_underflow 0
		.amdhsa_exception_fp_ieee_inexact 0
		.amdhsa_exception_int_div_zero 0
	.end_amdhsa_kernel
	.section	.text._Z25warp_store_guarded_kernelILj1024ELj4ELj1ELN6hipcub18WarpStoreAlgorithmE2EiEvPT3_S3_i,"axG",@progbits,_Z25warp_store_guarded_kernelILj1024ELj4ELj1ELN6hipcub18WarpStoreAlgorithmE2EiEvPT3_S3_i,comdat
.Lfunc_end29:
	.size	_Z25warp_store_guarded_kernelILj1024ELj4ELj1ELN6hipcub18WarpStoreAlgorithmE2EiEvPT3_S3_i, .Lfunc_end29-_Z25warp_store_guarded_kernelILj1024ELj4ELj1ELN6hipcub18WarpStoreAlgorithmE2EiEvPT3_S3_i
                                        ; -- End function
	.set _Z25warp_store_guarded_kernelILj1024ELj4ELj1ELN6hipcub18WarpStoreAlgorithmE2EiEvPT3_S3_i.num_vgpr, 8
	.set _Z25warp_store_guarded_kernelILj1024ELj4ELj1ELN6hipcub18WarpStoreAlgorithmE2EiEvPT3_S3_i.num_agpr, 0
	.set _Z25warp_store_guarded_kernelILj1024ELj4ELj1ELN6hipcub18WarpStoreAlgorithmE2EiEvPT3_S3_i.numbered_sgpr, 8
	.set _Z25warp_store_guarded_kernelILj1024ELj4ELj1ELN6hipcub18WarpStoreAlgorithmE2EiEvPT3_S3_i.num_named_barrier, 0
	.set _Z25warp_store_guarded_kernelILj1024ELj4ELj1ELN6hipcub18WarpStoreAlgorithmE2EiEvPT3_S3_i.private_seg_size, 0
	.set _Z25warp_store_guarded_kernelILj1024ELj4ELj1ELN6hipcub18WarpStoreAlgorithmE2EiEvPT3_S3_i.uses_vcc, 0
	.set _Z25warp_store_guarded_kernelILj1024ELj4ELj1ELN6hipcub18WarpStoreAlgorithmE2EiEvPT3_S3_i.uses_flat_scratch, 0
	.set _Z25warp_store_guarded_kernelILj1024ELj4ELj1ELN6hipcub18WarpStoreAlgorithmE2EiEvPT3_S3_i.has_dyn_sized_stack, 0
	.set _Z25warp_store_guarded_kernelILj1024ELj4ELj1ELN6hipcub18WarpStoreAlgorithmE2EiEvPT3_S3_i.has_recursion, 0
	.set _Z25warp_store_guarded_kernelILj1024ELj4ELj1ELN6hipcub18WarpStoreAlgorithmE2EiEvPT3_S3_i.has_indirect_call, 0
	.section	.AMDGPU.csdata,"",@progbits
; Kernel info:
; codeLenInByte = 188
; TotalNumSgprs: 8
; NumVgprs: 8
; ScratchSize: 0
; MemoryBound: 0
; FloatMode: 240
; IeeeMode: 1
; LDSByteSize: 0 bytes/workgroup (compile time only)
; SGPRBlocks: 0
; VGPRBlocks: 0
; NumSGPRsForWavesPerEU: 8
; NumVGPRsForWavesPerEU: 8
; NamedBarCnt: 0
; Occupancy: 16
; WaveLimiterHint : 0
; COMPUTE_PGM_RSRC2:SCRATCH_EN: 0
; COMPUTE_PGM_RSRC2:USER_SGPR: 2
; COMPUTE_PGM_RSRC2:TRAP_HANDLER: 0
; COMPUTE_PGM_RSRC2:TGID_X_EN: 1
; COMPUTE_PGM_RSRC2:TGID_Y_EN: 0
; COMPUTE_PGM_RSRC2:TGID_Z_EN: 0
; COMPUTE_PGM_RSRC2:TIDIG_COMP_CNT: 0
	.section	.text._Z25warp_store_guarded_kernelILj1024ELj4ELj1ELN6hipcub18WarpStoreAlgorithmE1EiEvPT3_S3_i,"axG",@progbits,_Z25warp_store_guarded_kernelILj1024ELj4ELj1ELN6hipcub18WarpStoreAlgorithmE1EiEvPT3_S3_i,comdat
	.protected	_Z25warp_store_guarded_kernelILj1024ELj4ELj1ELN6hipcub18WarpStoreAlgorithmE1EiEvPT3_S3_i ; -- Begin function _Z25warp_store_guarded_kernelILj1024ELj4ELj1ELN6hipcub18WarpStoreAlgorithmE1EiEvPT3_S3_i
	.globl	_Z25warp_store_guarded_kernelILj1024ELj4ELj1ELN6hipcub18WarpStoreAlgorithmE1EiEvPT3_S3_i
	.p2align	8
	.type	_Z25warp_store_guarded_kernelILj1024ELj4ELj1ELN6hipcub18WarpStoreAlgorithmE1EiEvPT3_S3_i,@function
_Z25warp_store_guarded_kernelILj1024ELj4ELj1ELN6hipcub18WarpStoreAlgorithmE1EiEvPT3_S3_i: ; @_Z25warp_store_guarded_kernelILj1024ELj4ELj1ELN6hipcub18WarpStoreAlgorithmE1EiEvPT3_S3_i
; %bb.0:
	s_load_b128 s[4:7], s[0:1], 0x0
	v_dual_mov_b32 v7, 0 :: v_dual_lshlrev_b32 v6, 4, v0
	s_wait_xcnt 0x0
	s_load_b32 s0, s[0:1], 0x10
	s_wait_kmcnt 0x0
	global_load_b96 v[0:2], v6, s[4:5] offset:4
	v_add_nc_u64_e32 v[4:5], s[6:7], v[6:7]
	s_cmp_eq_u32 s0, 0
	s_cbranch_scc1 .LBB30_2
; %bb.1:
	s_wait_xcnt 0x0
	v_add_nc_u64_e32 v[6:7], s[4:5], v[6:7]
	global_load_b32 v3, v[6:7], off
	s_wait_loadcnt 0x0
	global_store_b32 v[4:5], v3, off
.LBB30_2:
	s_cmp_lt_u32 s0, 2
	s_cbranch_scc0 .LBB30_6
; %bb.3:
	s_cmp_lt_u32 s0, 3
	s_cbranch_scc0 .LBB30_7
.LBB30_4:
	s_cmp_lt_u32 s0, 4
	s_cbranch_scc0 .LBB30_8
.LBB30_5:
	s_endpgm
.LBB30_6:
	s_wait_loadcnt 0x0
	global_store_b32 v[4:5], v0, off offset:4
	s_cmp_lt_u32 s0, 3
	s_cbranch_scc1 .LBB30_4
.LBB30_7:
	s_wait_loadcnt 0x0
	global_store_b32 v[4:5], v1, off offset:8
	s_cmp_lt_u32 s0, 4
	s_cbranch_scc1 .LBB30_5
.LBB30_8:
	s_wait_loadcnt 0x0
	global_store_b32 v[4:5], v2, off offset:12
	s_endpgm
	.section	.rodata,"a",@progbits
	.p2align	6, 0x0
	.amdhsa_kernel _Z25warp_store_guarded_kernelILj1024ELj4ELj1ELN6hipcub18WarpStoreAlgorithmE1EiEvPT3_S3_i
		.amdhsa_group_segment_fixed_size 0
		.amdhsa_private_segment_fixed_size 0
		.amdhsa_kernarg_size 20
		.amdhsa_user_sgpr_count 2
		.amdhsa_user_sgpr_dispatch_ptr 0
		.amdhsa_user_sgpr_queue_ptr 0
		.amdhsa_user_sgpr_kernarg_segment_ptr 1
		.amdhsa_user_sgpr_dispatch_id 0
		.amdhsa_user_sgpr_kernarg_preload_length 0
		.amdhsa_user_sgpr_kernarg_preload_offset 0
		.amdhsa_user_sgpr_private_segment_size 0
		.amdhsa_wavefront_size32 1
		.amdhsa_uses_dynamic_stack 0
		.amdhsa_enable_private_segment 0
		.amdhsa_system_sgpr_workgroup_id_x 1
		.amdhsa_system_sgpr_workgroup_id_y 0
		.amdhsa_system_sgpr_workgroup_id_z 0
		.amdhsa_system_sgpr_workgroup_info 0
		.amdhsa_system_vgpr_workitem_id 0
		.amdhsa_next_free_vgpr 8
		.amdhsa_next_free_sgpr 8
		.amdhsa_named_barrier_count 0
		.amdhsa_reserve_vcc 0
		.amdhsa_float_round_mode_32 0
		.amdhsa_float_round_mode_16_64 0
		.amdhsa_float_denorm_mode_32 3
		.amdhsa_float_denorm_mode_16_64 3
		.amdhsa_fp16_overflow 0
		.amdhsa_memory_ordered 1
		.amdhsa_forward_progress 1
		.amdhsa_inst_pref_size 2
		.amdhsa_round_robin_scheduling 0
		.amdhsa_exception_fp_ieee_invalid_op 0
		.amdhsa_exception_fp_denorm_src 0
		.amdhsa_exception_fp_ieee_div_zero 0
		.amdhsa_exception_fp_ieee_overflow 0
		.amdhsa_exception_fp_ieee_underflow 0
		.amdhsa_exception_fp_ieee_inexact 0
		.amdhsa_exception_int_div_zero 0
	.end_amdhsa_kernel
	.section	.text._Z25warp_store_guarded_kernelILj1024ELj4ELj1ELN6hipcub18WarpStoreAlgorithmE1EiEvPT3_S3_i,"axG",@progbits,_Z25warp_store_guarded_kernelILj1024ELj4ELj1ELN6hipcub18WarpStoreAlgorithmE1EiEvPT3_S3_i,comdat
.Lfunc_end30:
	.size	_Z25warp_store_guarded_kernelILj1024ELj4ELj1ELN6hipcub18WarpStoreAlgorithmE1EiEvPT3_S3_i, .Lfunc_end30-_Z25warp_store_guarded_kernelILj1024ELj4ELj1ELN6hipcub18WarpStoreAlgorithmE1EiEvPT3_S3_i
                                        ; -- End function
	.set _Z25warp_store_guarded_kernelILj1024ELj4ELj1ELN6hipcub18WarpStoreAlgorithmE1EiEvPT3_S3_i.num_vgpr, 8
	.set _Z25warp_store_guarded_kernelILj1024ELj4ELj1ELN6hipcub18WarpStoreAlgorithmE1EiEvPT3_S3_i.num_agpr, 0
	.set _Z25warp_store_guarded_kernelILj1024ELj4ELj1ELN6hipcub18WarpStoreAlgorithmE1EiEvPT3_S3_i.numbered_sgpr, 8
	.set _Z25warp_store_guarded_kernelILj1024ELj4ELj1ELN6hipcub18WarpStoreAlgorithmE1EiEvPT3_S3_i.num_named_barrier, 0
	.set _Z25warp_store_guarded_kernelILj1024ELj4ELj1ELN6hipcub18WarpStoreAlgorithmE1EiEvPT3_S3_i.private_seg_size, 0
	.set _Z25warp_store_guarded_kernelILj1024ELj4ELj1ELN6hipcub18WarpStoreAlgorithmE1EiEvPT3_S3_i.uses_vcc, 0
	.set _Z25warp_store_guarded_kernelILj1024ELj4ELj1ELN6hipcub18WarpStoreAlgorithmE1EiEvPT3_S3_i.uses_flat_scratch, 0
	.set _Z25warp_store_guarded_kernelILj1024ELj4ELj1ELN6hipcub18WarpStoreAlgorithmE1EiEvPT3_S3_i.has_dyn_sized_stack, 0
	.set _Z25warp_store_guarded_kernelILj1024ELj4ELj1ELN6hipcub18WarpStoreAlgorithmE1EiEvPT3_S3_i.has_recursion, 0
	.set _Z25warp_store_guarded_kernelILj1024ELj4ELj1ELN6hipcub18WarpStoreAlgorithmE1EiEvPT3_S3_i.has_indirect_call, 0
	.section	.AMDGPU.csdata,"",@progbits
; Kernel info:
; codeLenInByte = 188
; TotalNumSgprs: 8
; NumVgprs: 8
; ScratchSize: 0
; MemoryBound: 0
; FloatMode: 240
; IeeeMode: 1
; LDSByteSize: 0 bytes/workgroup (compile time only)
; SGPRBlocks: 0
; VGPRBlocks: 0
; NumSGPRsForWavesPerEU: 8
; NumVGPRsForWavesPerEU: 8
; NamedBarCnt: 0
; Occupancy: 16
; WaveLimiterHint : 0
; COMPUTE_PGM_RSRC2:SCRATCH_EN: 0
; COMPUTE_PGM_RSRC2:USER_SGPR: 2
; COMPUTE_PGM_RSRC2:TRAP_HANDLER: 0
; COMPUTE_PGM_RSRC2:TGID_X_EN: 1
; COMPUTE_PGM_RSRC2:TGID_Y_EN: 0
; COMPUTE_PGM_RSRC2:TGID_Z_EN: 0
; COMPUTE_PGM_RSRC2:TIDIG_COMP_CNT: 0
	.section	.text._Z25warp_store_guarded_kernelILj1024ELj4ELj1ELN6hipcub18WarpStoreAlgorithmE0EiEvPT3_S3_i,"axG",@progbits,_Z25warp_store_guarded_kernelILj1024ELj4ELj1ELN6hipcub18WarpStoreAlgorithmE0EiEvPT3_S3_i,comdat
	.protected	_Z25warp_store_guarded_kernelILj1024ELj4ELj1ELN6hipcub18WarpStoreAlgorithmE0EiEvPT3_S3_i ; -- Begin function _Z25warp_store_guarded_kernelILj1024ELj4ELj1ELN6hipcub18WarpStoreAlgorithmE0EiEvPT3_S3_i
	.globl	_Z25warp_store_guarded_kernelILj1024ELj4ELj1ELN6hipcub18WarpStoreAlgorithmE0EiEvPT3_S3_i
	.p2align	8
	.type	_Z25warp_store_guarded_kernelILj1024ELj4ELj1ELN6hipcub18WarpStoreAlgorithmE0EiEvPT3_S3_i,@function
_Z25warp_store_guarded_kernelILj1024ELj4ELj1ELN6hipcub18WarpStoreAlgorithmE0EiEvPT3_S3_i: ; @_Z25warp_store_guarded_kernelILj1024ELj4ELj1ELN6hipcub18WarpStoreAlgorithmE0EiEvPT3_S3_i
; %bb.0:
	s_load_b128 s[4:7], s[0:1], 0x0
	v_dual_mov_b32 v7, 0 :: v_dual_lshlrev_b32 v6, 4, v0
	s_wait_xcnt 0x0
	s_load_b32 s0, s[0:1], 0x10
	s_wait_kmcnt 0x0
	global_load_b96 v[0:2], v6, s[4:5] offset:4
	v_add_nc_u64_e32 v[4:5], s[6:7], v[6:7]
	s_cmp_eq_u32 s0, 0
	s_cbranch_scc1 .LBB31_2
; %bb.1:
	s_wait_xcnt 0x0
	v_add_nc_u64_e32 v[6:7], s[4:5], v[6:7]
	global_load_b32 v3, v[6:7], off
	s_wait_loadcnt 0x0
	global_store_b32 v[4:5], v3, off
.LBB31_2:
	s_cmp_lt_u32 s0, 2
	s_cbranch_scc0 .LBB31_6
; %bb.3:
	s_cmp_lt_u32 s0, 3
	s_cbranch_scc0 .LBB31_7
.LBB31_4:
	s_cmp_lt_u32 s0, 4
	s_cbranch_scc0 .LBB31_8
.LBB31_5:
	s_endpgm
.LBB31_6:
	s_wait_loadcnt 0x0
	global_store_b32 v[4:5], v0, off offset:4
	s_cmp_lt_u32 s0, 3
	s_cbranch_scc1 .LBB31_4
.LBB31_7:
	s_wait_loadcnt 0x0
	global_store_b32 v[4:5], v1, off offset:8
	s_cmp_lt_u32 s0, 4
	s_cbranch_scc1 .LBB31_5
.LBB31_8:
	s_wait_loadcnt 0x0
	global_store_b32 v[4:5], v2, off offset:12
	s_endpgm
	.section	.rodata,"a",@progbits
	.p2align	6, 0x0
	.amdhsa_kernel _Z25warp_store_guarded_kernelILj1024ELj4ELj1ELN6hipcub18WarpStoreAlgorithmE0EiEvPT3_S3_i
		.amdhsa_group_segment_fixed_size 0
		.amdhsa_private_segment_fixed_size 0
		.amdhsa_kernarg_size 20
		.amdhsa_user_sgpr_count 2
		.amdhsa_user_sgpr_dispatch_ptr 0
		.amdhsa_user_sgpr_queue_ptr 0
		.amdhsa_user_sgpr_kernarg_segment_ptr 1
		.amdhsa_user_sgpr_dispatch_id 0
		.amdhsa_user_sgpr_kernarg_preload_length 0
		.amdhsa_user_sgpr_kernarg_preload_offset 0
		.amdhsa_user_sgpr_private_segment_size 0
		.amdhsa_wavefront_size32 1
		.amdhsa_uses_dynamic_stack 0
		.amdhsa_enable_private_segment 0
		.amdhsa_system_sgpr_workgroup_id_x 1
		.amdhsa_system_sgpr_workgroup_id_y 0
		.amdhsa_system_sgpr_workgroup_id_z 0
		.amdhsa_system_sgpr_workgroup_info 0
		.amdhsa_system_vgpr_workitem_id 0
		.amdhsa_next_free_vgpr 8
		.amdhsa_next_free_sgpr 8
		.amdhsa_named_barrier_count 0
		.amdhsa_reserve_vcc 0
		.amdhsa_float_round_mode_32 0
		.amdhsa_float_round_mode_16_64 0
		.amdhsa_float_denorm_mode_32 3
		.amdhsa_float_denorm_mode_16_64 3
		.amdhsa_fp16_overflow 0
		.amdhsa_memory_ordered 1
		.amdhsa_forward_progress 1
		.amdhsa_inst_pref_size 2
		.amdhsa_round_robin_scheduling 0
		.amdhsa_exception_fp_ieee_invalid_op 0
		.amdhsa_exception_fp_denorm_src 0
		.amdhsa_exception_fp_ieee_div_zero 0
		.amdhsa_exception_fp_ieee_overflow 0
		.amdhsa_exception_fp_ieee_underflow 0
		.amdhsa_exception_fp_ieee_inexact 0
		.amdhsa_exception_int_div_zero 0
	.end_amdhsa_kernel
	.section	.text._Z25warp_store_guarded_kernelILj1024ELj4ELj1ELN6hipcub18WarpStoreAlgorithmE0EiEvPT3_S3_i,"axG",@progbits,_Z25warp_store_guarded_kernelILj1024ELj4ELj1ELN6hipcub18WarpStoreAlgorithmE0EiEvPT3_S3_i,comdat
.Lfunc_end31:
	.size	_Z25warp_store_guarded_kernelILj1024ELj4ELj1ELN6hipcub18WarpStoreAlgorithmE0EiEvPT3_S3_i, .Lfunc_end31-_Z25warp_store_guarded_kernelILj1024ELj4ELj1ELN6hipcub18WarpStoreAlgorithmE0EiEvPT3_S3_i
                                        ; -- End function
	.set _Z25warp_store_guarded_kernelILj1024ELj4ELj1ELN6hipcub18WarpStoreAlgorithmE0EiEvPT3_S3_i.num_vgpr, 8
	.set _Z25warp_store_guarded_kernelILj1024ELj4ELj1ELN6hipcub18WarpStoreAlgorithmE0EiEvPT3_S3_i.num_agpr, 0
	.set _Z25warp_store_guarded_kernelILj1024ELj4ELj1ELN6hipcub18WarpStoreAlgorithmE0EiEvPT3_S3_i.numbered_sgpr, 8
	.set _Z25warp_store_guarded_kernelILj1024ELj4ELj1ELN6hipcub18WarpStoreAlgorithmE0EiEvPT3_S3_i.num_named_barrier, 0
	.set _Z25warp_store_guarded_kernelILj1024ELj4ELj1ELN6hipcub18WarpStoreAlgorithmE0EiEvPT3_S3_i.private_seg_size, 0
	.set _Z25warp_store_guarded_kernelILj1024ELj4ELj1ELN6hipcub18WarpStoreAlgorithmE0EiEvPT3_S3_i.uses_vcc, 0
	.set _Z25warp_store_guarded_kernelILj1024ELj4ELj1ELN6hipcub18WarpStoreAlgorithmE0EiEvPT3_S3_i.uses_flat_scratch, 0
	.set _Z25warp_store_guarded_kernelILj1024ELj4ELj1ELN6hipcub18WarpStoreAlgorithmE0EiEvPT3_S3_i.has_dyn_sized_stack, 0
	.set _Z25warp_store_guarded_kernelILj1024ELj4ELj1ELN6hipcub18WarpStoreAlgorithmE0EiEvPT3_S3_i.has_recursion, 0
	.set _Z25warp_store_guarded_kernelILj1024ELj4ELj1ELN6hipcub18WarpStoreAlgorithmE0EiEvPT3_S3_i.has_indirect_call, 0
	.section	.AMDGPU.csdata,"",@progbits
; Kernel info:
; codeLenInByte = 188
; TotalNumSgprs: 8
; NumVgprs: 8
; ScratchSize: 0
; MemoryBound: 0
; FloatMode: 240
; IeeeMode: 1
; LDSByteSize: 0 bytes/workgroup (compile time only)
; SGPRBlocks: 0
; VGPRBlocks: 0
; NumSGPRsForWavesPerEU: 8
; NumVGPRsForWavesPerEU: 8
; NamedBarCnt: 0
; Occupancy: 16
; WaveLimiterHint : 0
; COMPUTE_PGM_RSRC2:SCRATCH_EN: 0
; COMPUTE_PGM_RSRC2:USER_SGPR: 2
; COMPUTE_PGM_RSRC2:TRAP_HANDLER: 0
; COMPUTE_PGM_RSRC2:TGID_X_EN: 1
; COMPUTE_PGM_RSRC2:TGID_Y_EN: 0
; COMPUTE_PGM_RSRC2:TGID_Z_EN: 0
; COMPUTE_PGM_RSRC2:TIDIG_COMP_CNT: 0
	.section	.AMDGPU.gpr_maximums,"",@progbits
	.set amdgpu.max_num_vgpr, 0
	.set amdgpu.max_num_agpr, 0
	.set amdgpu.max_num_sgpr, 0
	.section	.AMDGPU.csdata,"",@progbits
	.type	__hip_cuid_b64e8aada3d2a714,@object ; @__hip_cuid_b64e8aada3d2a714
	.section	.bss,"aw",@nobits
	.globl	__hip_cuid_b64e8aada3d2a714
__hip_cuid_b64e8aada3d2a714:
	.byte	0                               ; 0x0
	.size	__hip_cuid_b64e8aada3d2a714, 1

	.ident	"AMD clang version 22.0.0git (https://github.com/RadeonOpenCompute/llvm-project roc-7.2.4 26084 f58b06dce1f9c15707c5f808fd002e18c2accf7e)"
	.section	".note.GNU-stack","",@progbits
	.addrsig
	.addrsig_sym __hip_cuid_b64e8aada3d2a714
	.amdgpu_metadata
---
amdhsa.kernels:
  - .args:
      - .address_space:  global
        .offset:         0
        .size:           8
        .value_kind:     global_buffer
      - .address_space:  global
        .offset:         8
        .size:           8
        .value_kind:     global_buffer
    .group_segment_fixed_size: 16384
    .kernarg_segment_align: 8
    .kernarg_segment_size: 16
    .language:       OpenCL C
    .language_version:
      - 2
      - 0
    .max_flat_workgroup_size: 1024
    .name:           _Z17warp_store_kernelILj1024ELj4ELj64ELN6hipcub18WarpStoreAlgorithmE3EiEvPT3_S3_
    .private_segment_fixed_size: 0
    .sgpr_count:     4
    .sgpr_spill_count: 0
    .symbol:         _Z17warp_store_kernelILj1024ELj4ELj64ELN6hipcub18WarpStoreAlgorithmE3EiEvPT3_S3_.kd
    .uniform_work_group_size: 1
    .uses_dynamic_stack: false
    .vgpr_count:     10
    .vgpr_spill_count: 0
    .wavefront_size: 32
  - .args:
      - .address_space:  global
        .offset:         0
        .size:           8
        .value_kind:     global_buffer
      - .address_space:  global
        .offset:         8
        .size:           8
        .value_kind:     global_buffer
    .group_segment_fixed_size: 0
    .kernarg_segment_align: 8
    .kernarg_segment_size: 16
    .language:       OpenCL C
    .language_version:
      - 2
      - 0
    .max_flat_workgroup_size: 1024
    .name:           _Z17warp_store_kernelILj1024ELj4ELj64ELN6hipcub18WarpStoreAlgorithmE2EiEvPT3_S3_
    .private_segment_fixed_size: 0
    .sgpr_count:     4
    .sgpr_spill_count: 0
    .symbol:         _Z17warp_store_kernelILj1024ELj4ELj64ELN6hipcub18WarpStoreAlgorithmE2EiEvPT3_S3_.kd
    .uniform_work_group_size: 1
    .uses_dynamic_stack: false
    .vgpr_count:     9
    .vgpr_spill_count: 0
    .wavefront_size: 32
  - .args:
      - .address_space:  global
        .offset:         0
        .size:           8
        .value_kind:     global_buffer
      - .address_space:  global
        .offset:         8
        .size:           8
        .value_kind:     global_buffer
    .group_segment_fixed_size: 0
    .kernarg_segment_align: 8
    .kernarg_segment_size: 16
    .language:       OpenCL C
    .language_version:
      - 2
      - 0
    .max_flat_workgroup_size: 1024
    .name:           _Z17warp_store_kernelILj1024ELj4ELj64ELN6hipcub18WarpStoreAlgorithmE1EiEvPT3_S3_
    .private_segment_fixed_size: 0
    .sgpr_count:     4
    .sgpr_spill_count: 0
    .symbol:         _Z17warp_store_kernelILj1024ELj4ELj64ELN6hipcub18WarpStoreAlgorithmE1EiEvPT3_S3_.kd
    .uniform_work_group_size: 1
    .uses_dynamic_stack: false
    .vgpr_count:     9
    .vgpr_spill_count: 0
    .wavefront_size: 32
  - .args:
      - .address_space:  global
        .offset:         0
        .size:           8
        .value_kind:     global_buffer
      - .address_space:  global
        .offset:         8
        .size:           8
        .value_kind:     global_buffer
    .group_segment_fixed_size: 0
    .kernarg_segment_align: 8
    .kernarg_segment_size: 16
    .language:       OpenCL C
    .language_version:
      - 2
      - 0
    .max_flat_workgroup_size: 1024
    .name:           _Z17warp_store_kernelILj1024ELj4ELj64ELN6hipcub18WarpStoreAlgorithmE0EiEvPT3_S3_
    .private_segment_fixed_size: 0
    .sgpr_count:     4
    .sgpr_spill_count: 0
    .symbol:         _Z17warp_store_kernelILj1024ELj4ELj64ELN6hipcub18WarpStoreAlgorithmE0EiEvPT3_S3_.kd
    .uniform_work_group_size: 1
    .uses_dynamic_stack: false
    .vgpr_count:     9
    .vgpr_spill_count: 0
    .wavefront_size: 32
  - .args:
      - .address_space:  global
        .offset:         0
        .size:           8
        .value_kind:     global_buffer
      - .address_space:  global
        .offset:         8
        .size:           8
        .value_kind:     global_buffer
    .group_segment_fixed_size: 16384
    .kernarg_segment_align: 8
    .kernarg_segment_size: 16
    .language:       OpenCL C
    .language_version:
      - 2
      - 0
    .max_flat_workgroup_size: 1024
    .name:           _Z17warp_store_kernelILj1024ELj4ELj32ELN6hipcub18WarpStoreAlgorithmE3EiEvPT3_S3_
    .private_segment_fixed_size: 0
    .sgpr_count:     4
    .sgpr_spill_count: 0
    .symbol:         _Z17warp_store_kernelILj1024ELj4ELj32ELN6hipcub18WarpStoreAlgorithmE3EiEvPT3_S3_.kd
    .uniform_work_group_size: 1
    .uses_dynamic_stack: false
    .vgpr_count:     9
    .vgpr_spill_count: 0
    .wavefront_size: 32
  - .args:
      - .address_space:  global
        .offset:         0
        .size:           8
        .value_kind:     global_buffer
      - .address_space:  global
        .offset:         8
        .size:           8
        .value_kind:     global_buffer
    .group_segment_fixed_size: 0
    .kernarg_segment_align: 8
    .kernarg_segment_size: 16
    .language:       OpenCL C
    .language_version:
      - 2
      - 0
    .max_flat_workgroup_size: 1024
    .name:           _Z17warp_store_kernelILj1024ELj4ELj32ELN6hipcub18WarpStoreAlgorithmE2EiEvPT3_S3_
    .private_segment_fixed_size: 0
    .sgpr_count:     4
    .sgpr_spill_count: 0
    .symbol:         _Z17warp_store_kernelILj1024ELj4ELj32ELN6hipcub18WarpStoreAlgorithmE2EiEvPT3_S3_.kd
    .uniform_work_group_size: 1
    .uses_dynamic_stack: false
    .vgpr_count:     9
    .vgpr_spill_count: 0
    .wavefront_size: 32
  - .args:
      - .address_space:  global
        .offset:         0
        .size:           8
        .value_kind:     global_buffer
      - .address_space:  global
        .offset:         8
        .size:           8
        .value_kind:     global_buffer
    .group_segment_fixed_size: 0
    .kernarg_segment_align: 8
    .kernarg_segment_size: 16
    .language:       OpenCL C
    .language_version:
      - 2
      - 0
    .max_flat_workgroup_size: 1024
    .name:           _Z17warp_store_kernelILj1024ELj4ELj32ELN6hipcub18WarpStoreAlgorithmE1EiEvPT3_S3_
    .private_segment_fixed_size: 0
    .sgpr_count:     4
    .sgpr_spill_count: 0
    .symbol:         _Z17warp_store_kernelILj1024ELj4ELj32ELN6hipcub18WarpStoreAlgorithmE1EiEvPT3_S3_.kd
    .uniform_work_group_size: 1
    .uses_dynamic_stack: false
    .vgpr_count:     9
    .vgpr_spill_count: 0
    .wavefront_size: 32
  - .args:
      - .address_space:  global
        .offset:         0
        .size:           8
        .value_kind:     global_buffer
      - .address_space:  global
        .offset:         8
        .size:           8
        .value_kind:     global_buffer
    .group_segment_fixed_size: 0
    .kernarg_segment_align: 8
    .kernarg_segment_size: 16
    .language:       OpenCL C
    .language_version:
      - 2
      - 0
    .max_flat_workgroup_size: 1024
    .name:           _Z17warp_store_kernelILj1024ELj4ELj32ELN6hipcub18WarpStoreAlgorithmE0EiEvPT3_S3_
    .private_segment_fixed_size: 0
    .sgpr_count:     4
    .sgpr_spill_count: 0
    .symbol:         _Z17warp_store_kernelILj1024ELj4ELj32ELN6hipcub18WarpStoreAlgorithmE0EiEvPT3_S3_.kd
    .uniform_work_group_size: 1
    .uses_dynamic_stack: false
    .vgpr_count:     9
    .vgpr_spill_count: 0
    .wavefront_size: 32
  - .args:
      - .address_space:  global
        .offset:         0
        .size:           8
        .value_kind:     global_buffer
      - .address_space:  global
        .offset:         8
        .size:           8
        .value_kind:     global_buffer
    .group_segment_fixed_size: 16384
    .kernarg_segment_align: 8
    .kernarg_segment_size: 16
    .language:       OpenCL C
    .language_version:
      - 2
      - 0
    .max_flat_workgroup_size: 1024
    .name:           _Z17warp_store_kernelILj1024ELj4ELj16ELN6hipcub18WarpStoreAlgorithmE3EiEvPT3_S3_
    .private_segment_fixed_size: 0
    .sgpr_count:     4
    .sgpr_spill_count: 0
    .symbol:         _Z17warp_store_kernelILj1024ELj4ELj16ELN6hipcub18WarpStoreAlgorithmE3EiEvPT3_S3_.kd
    .uniform_work_group_size: 1
    .uses_dynamic_stack: false
    .vgpr_count:     9
    .vgpr_spill_count: 0
    .wavefront_size: 32
  - .args:
      - .address_space:  global
        .offset:         0
        .size:           8
        .value_kind:     global_buffer
      - .address_space:  global
        .offset:         8
        .size:           8
        .value_kind:     global_buffer
    .group_segment_fixed_size: 0
    .kernarg_segment_align: 8
    .kernarg_segment_size: 16
    .language:       OpenCL C
    .language_version:
      - 2
      - 0
    .max_flat_workgroup_size: 1024
    .name:           _Z17warp_store_kernelILj1024ELj4ELj16ELN6hipcub18WarpStoreAlgorithmE2EiEvPT3_S3_
    .private_segment_fixed_size: 0
    .sgpr_count:     4
    .sgpr_spill_count: 0
    .symbol:         _Z17warp_store_kernelILj1024ELj4ELj16ELN6hipcub18WarpStoreAlgorithmE2EiEvPT3_S3_.kd
    .uniform_work_group_size: 1
    .uses_dynamic_stack: false
    .vgpr_count:     9
    .vgpr_spill_count: 0
    .wavefront_size: 32
  - .args:
      - .address_space:  global
        .offset:         0
        .size:           8
        .value_kind:     global_buffer
      - .address_space:  global
        .offset:         8
        .size:           8
        .value_kind:     global_buffer
    .group_segment_fixed_size: 0
    .kernarg_segment_align: 8
    .kernarg_segment_size: 16
    .language:       OpenCL C
    .language_version:
      - 2
      - 0
    .max_flat_workgroup_size: 1024
    .name:           _Z17warp_store_kernelILj1024ELj4ELj16ELN6hipcub18WarpStoreAlgorithmE1EiEvPT3_S3_
    .private_segment_fixed_size: 0
    .sgpr_count:     4
    .sgpr_spill_count: 0
    .symbol:         _Z17warp_store_kernelILj1024ELj4ELj16ELN6hipcub18WarpStoreAlgorithmE1EiEvPT3_S3_.kd
    .uniform_work_group_size: 1
    .uses_dynamic_stack: false
    .vgpr_count:     9
    .vgpr_spill_count: 0
    .wavefront_size: 32
  - .args:
      - .address_space:  global
        .offset:         0
        .size:           8
        .value_kind:     global_buffer
      - .address_space:  global
        .offset:         8
        .size:           8
        .value_kind:     global_buffer
    .group_segment_fixed_size: 0
    .kernarg_segment_align: 8
    .kernarg_segment_size: 16
    .language:       OpenCL C
    .language_version:
      - 2
      - 0
    .max_flat_workgroup_size: 1024
    .name:           _Z17warp_store_kernelILj1024ELj4ELj16ELN6hipcub18WarpStoreAlgorithmE0EiEvPT3_S3_
    .private_segment_fixed_size: 0
    .sgpr_count:     4
    .sgpr_spill_count: 0
    .symbol:         _Z17warp_store_kernelILj1024ELj4ELj16ELN6hipcub18WarpStoreAlgorithmE0EiEvPT3_S3_.kd
    .uniform_work_group_size: 1
    .uses_dynamic_stack: false
    .vgpr_count:     9
    .vgpr_spill_count: 0
    .wavefront_size: 32
  - .args:
      - .address_space:  global
        .offset:         0
        .size:           8
        .value_kind:     global_buffer
      - .address_space:  global
        .offset:         8
        .size:           8
        .value_kind:     global_buffer
    .group_segment_fixed_size: 16384
    .kernarg_segment_align: 8
    .kernarg_segment_size: 16
    .language:       OpenCL C
    .language_version:
      - 2
      - 0
    .max_flat_workgroup_size: 1024
    .name:           _Z17warp_store_kernelILj1024ELj4ELj1ELN6hipcub18WarpStoreAlgorithmE3EiEvPT3_S3_
    .private_segment_fixed_size: 0
    .sgpr_count:     4
    .sgpr_spill_count: 0
    .symbol:         _Z17warp_store_kernelILj1024ELj4ELj1ELN6hipcub18WarpStoreAlgorithmE3EiEvPT3_S3_.kd
    .uniform_work_group_size: 1
    .uses_dynamic_stack: false
    .vgpr_count:     6
    .vgpr_spill_count: 0
    .wavefront_size: 32
  - .args:
      - .address_space:  global
        .offset:         0
        .size:           8
        .value_kind:     global_buffer
      - .address_space:  global
        .offset:         8
        .size:           8
        .value_kind:     global_buffer
    .group_segment_fixed_size: 0
    .kernarg_segment_align: 8
    .kernarg_segment_size: 16
    .language:       OpenCL C
    .language_version:
      - 2
      - 0
    .max_flat_workgroup_size: 1024
    .name:           _Z17warp_store_kernelILj1024ELj4ELj1ELN6hipcub18WarpStoreAlgorithmE2EiEvPT3_S3_
    .private_segment_fixed_size: 0
    .sgpr_count:     4
    .sgpr_spill_count: 0
    .symbol:         _Z17warp_store_kernelILj1024ELj4ELj1ELN6hipcub18WarpStoreAlgorithmE2EiEvPT3_S3_.kd
    .uniform_work_group_size: 1
    .uses_dynamic_stack: false
    .vgpr_count:     6
    .vgpr_spill_count: 0
    .wavefront_size: 32
  - .args:
      - .address_space:  global
        .offset:         0
        .size:           8
        .value_kind:     global_buffer
      - .address_space:  global
        .offset:         8
        .size:           8
        .value_kind:     global_buffer
    .group_segment_fixed_size: 0
    .kernarg_segment_align: 8
    .kernarg_segment_size: 16
    .language:       OpenCL C
    .language_version:
      - 2
      - 0
    .max_flat_workgroup_size: 1024
    .name:           _Z17warp_store_kernelILj1024ELj4ELj1ELN6hipcub18WarpStoreAlgorithmE1EiEvPT3_S3_
    .private_segment_fixed_size: 0
    .sgpr_count:     4
    .sgpr_spill_count: 0
    .symbol:         _Z17warp_store_kernelILj1024ELj4ELj1ELN6hipcub18WarpStoreAlgorithmE1EiEvPT3_S3_.kd
    .uniform_work_group_size: 1
    .uses_dynamic_stack: false
    .vgpr_count:     6
    .vgpr_spill_count: 0
    .wavefront_size: 32
  - .args:
      - .address_space:  global
        .offset:         0
        .size:           8
        .value_kind:     global_buffer
      - .address_space:  global
        .offset:         8
        .size:           8
        .value_kind:     global_buffer
    .group_segment_fixed_size: 0
    .kernarg_segment_align: 8
    .kernarg_segment_size: 16
    .language:       OpenCL C
    .language_version:
      - 2
      - 0
    .max_flat_workgroup_size: 1024
    .name:           _Z17warp_store_kernelILj1024ELj4ELj1ELN6hipcub18WarpStoreAlgorithmE0EiEvPT3_S3_
    .private_segment_fixed_size: 0
    .sgpr_count:     4
    .sgpr_spill_count: 0
    .symbol:         _Z17warp_store_kernelILj1024ELj4ELj1ELN6hipcub18WarpStoreAlgorithmE0EiEvPT3_S3_.kd
    .uniform_work_group_size: 1
    .uses_dynamic_stack: false
    .vgpr_count:     6
    .vgpr_spill_count: 0
    .wavefront_size: 32
  - .args:
      - .address_space:  global
        .offset:         0
        .size:           8
        .value_kind:     global_buffer
      - .address_space:  global
        .offset:         8
        .size:           8
        .value_kind:     global_buffer
      - .offset:         16
        .size:           4
        .value_kind:     by_value
    .group_segment_fixed_size: 16384
    .kernarg_segment_align: 8
    .kernarg_segment_size: 20
    .language:       OpenCL C
    .language_version:
      - 2
      - 0
    .max_flat_workgroup_size: 1024
    .name:           _Z25warp_store_guarded_kernelILj1024ELj4ELj64ELN6hipcub18WarpStoreAlgorithmE3EiEvPT3_S3_i
    .private_segment_fixed_size: 0
    .sgpr_count:     8
    .sgpr_spill_count: 0
    .symbol:         _Z25warp_store_guarded_kernelILj1024ELj4ELj64ELN6hipcub18WarpStoreAlgorithmE3EiEvPT3_S3_i.kd
    .uniform_work_group_size: 1
    .uses_dynamic_stack: false
    .vgpr_count:     14
    .vgpr_spill_count: 0
    .wavefront_size: 32
  - .args:
      - .address_space:  global
        .offset:         0
        .size:           8
        .value_kind:     global_buffer
      - .address_space:  global
        .offset:         8
        .size:           8
        .value_kind:     global_buffer
      - .offset:         16
        .size:           4
        .value_kind:     by_value
    .group_segment_fixed_size: 0
    .kernarg_segment_align: 8
    .kernarg_segment_size: 20
    .language:       OpenCL C
    .language_version:
      - 2
      - 0
    .max_flat_workgroup_size: 1024
    .name:           _Z25warp_store_guarded_kernelILj1024ELj4ELj64ELN6hipcub18WarpStoreAlgorithmE2EiEvPT3_S3_i
    .private_segment_fixed_size: 0
    .sgpr_count:     10
    .sgpr_spill_count: 0
    .symbol:         _Z25warp_store_guarded_kernelILj1024ELj4ELj64ELN6hipcub18WarpStoreAlgorithmE2EiEvPT3_S3_i.kd
    .uniform_work_group_size: 1
    .uses_dynamic_stack: false
    .vgpr_count:     10
    .vgpr_spill_count: 0
    .wavefront_size: 32
  - .args:
      - .address_space:  global
        .offset:         0
        .size:           8
        .value_kind:     global_buffer
      - .address_space:  global
        .offset:         8
        .size:           8
        .value_kind:     global_buffer
      - .offset:         16
        .size:           4
        .value_kind:     by_value
    .group_segment_fixed_size: 0
    .kernarg_segment_align: 8
    .kernarg_segment_size: 20
    .language:       OpenCL C
    .language_version:
      - 2
      - 0
    .max_flat_workgroup_size: 1024
    .name:           _Z25warp_store_guarded_kernelILj1024ELj4ELj64ELN6hipcub18WarpStoreAlgorithmE1EiEvPT3_S3_i
    .private_segment_fixed_size: 0
    .sgpr_count:     10
    .sgpr_spill_count: 0
    .symbol:         _Z25warp_store_guarded_kernelILj1024ELj4ELj64ELN6hipcub18WarpStoreAlgorithmE1EiEvPT3_S3_i.kd
    .uniform_work_group_size: 1
    .uses_dynamic_stack: false
    .vgpr_count:     10
    .vgpr_spill_count: 0
    .wavefront_size: 32
  - .args:
      - .address_space:  global
        .offset:         0
        .size:           8
        .value_kind:     global_buffer
      - .address_space:  global
        .offset:         8
        .size:           8
        .value_kind:     global_buffer
      - .offset:         16
        .size:           4
        .value_kind:     by_value
    .group_segment_fixed_size: 0
    .kernarg_segment_align: 8
    .kernarg_segment_size: 20
    .language:       OpenCL C
    .language_version:
      - 2
      - 0
    .max_flat_workgroup_size: 1024
    .name:           _Z25warp_store_guarded_kernelILj1024ELj4ELj64ELN6hipcub18WarpStoreAlgorithmE0EiEvPT3_S3_i
    .private_segment_fixed_size: 0
    .sgpr_count:     10
    .sgpr_spill_count: 0
    .symbol:         _Z25warp_store_guarded_kernelILj1024ELj4ELj64ELN6hipcub18WarpStoreAlgorithmE0EiEvPT3_S3_i.kd
    .uniform_work_group_size: 1
    .uses_dynamic_stack: false
    .vgpr_count:     10
    .vgpr_spill_count: 0
    .wavefront_size: 32
  - .args:
      - .address_space:  global
        .offset:         0
        .size:           8
        .value_kind:     global_buffer
      - .address_space:  global
        .offset:         8
        .size:           8
        .value_kind:     global_buffer
      - .offset:         16
        .size:           4
        .value_kind:     by_value
    .group_segment_fixed_size: 16384
    .kernarg_segment_align: 8
    .kernarg_segment_size: 20
    .language:       OpenCL C
    .language_version:
      - 2
      - 0
    .max_flat_workgroup_size: 1024
    .name:           _Z25warp_store_guarded_kernelILj1024ELj4ELj32ELN6hipcub18WarpStoreAlgorithmE3EiEvPT3_S3_i
    .private_segment_fixed_size: 0
    .sgpr_count:     8
    .sgpr_spill_count: 0
    .symbol:         _Z25warp_store_guarded_kernelILj1024ELj4ELj32ELN6hipcub18WarpStoreAlgorithmE3EiEvPT3_S3_i.kd
    .uniform_work_group_size: 1
    .uses_dynamic_stack: false
    .vgpr_count:     12
    .vgpr_spill_count: 0
    .wavefront_size: 32
  - .args:
      - .address_space:  global
        .offset:         0
        .size:           8
        .value_kind:     global_buffer
      - .address_space:  global
        .offset:         8
        .size:           8
        .value_kind:     global_buffer
      - .offset:         16
        .size:           4
        .value_kind:     by_value
    .group_segment_fixed_size: 0
    .kernarg_segment_align: 8
    .kernarg_segment_size: 20
    .language:       OpenCL C
    .language_version:
      - 2
      - 0
    .max_flat_workgroup_size: 1024
    .name:           _Z25warp_store_guarded_kernelILj1024ELj4ELj32ELN6hipcub18WarpStoreAlgorithmE2EiEvPT3_S3_i
    .private_segment_fixed_size: 0
    .sgpr_count:     10
    .sgpr_spill_count: 0
    .symbol:         _Z25warp_store_guarded_kernelILj1024ELj4ELj32ELN6hipcub18WarpStoreAlgorithmE2EiEvPT3_S3_i.kd
    .uniform_work_group_size: 1
    .uses_dynamic_stack: false
    .vgpr_count:     10
    .vgpr_spill_count: 0
    .wavefront_size: 32
  - .args:
      - .address_space:  global
        .offset:         0
        .size:           8
        .value_kind:     global_buffer
      - .address_space:  global
        .offset:         8
        .size:           8
        .value_kind:     global_buffer
      - .offset:         16
        .size:           4
        .value_kind:     by_value
    .group_segment_fixed_size: 0
    .kernarg_segment_align: 8
    .kernarg_segment_size: 20
    .language:       OpenCL C
    .language_version:
      - 2
      - 0
    .max_flat_workgroup_size: 1024
    .name:           _Z25warp_store_guarded_kernelILj1024ELj4ELj32ELN6hipcub18WarpStoreAlgorithmE1EiEvPT3_S3_i
    .private_segment_fixed_size: 0
    .sgpr_count:     10
    .sgpr_spill_count: 0
    .symbol:         _Z25warp_store_guarded_kernelILj1024ELj4ELj32ELN6hipcub18WarpStoreAlgorithmE1EiEvPT3_S3_i.kd
    .uniform_work_group_size: 1
    .uses_dynamic_stack: false
    .vgpr_count:     10
    .vgpr_spill_count: 0
    .wavefront_size: 32
  - .args:
      - .address_space:  global
        .offset:         0
        .size:           8
        .value_kind:     global_buffer
      - .address_space:  global
        .offset:         8
        .size:           8
        .value_kind:     global_buffer
      - .offset:         16
        .size:           4
        .value_kind:     by_value
    .group_segment_fixed_size: 0
    .kernarg_segment_align: 8
    .kernarg_segment_size: 20
    .language:       OpenCL C
    .language_version:
      - 2
      - 0
    .max_flat_workgroup_size: 1024
    .name:           _Z25warp_store_guarded_kernelILj1024ELj4ELj32ELN6hipcub18WarpStoreAlgorithmE0EiEvPT3_S3_i
    .private_segment_fixed_size: 0
    .sgpr_count:     10
    .sgpr_spill_count: 0
    .symbol:         _Z25warp_store_guarded_kernelILj1024ELj4ELj32ELN6hipcub18WarpStoreAlgorithmE0EiEvPT3_S3_i.kd
    .uniform_work_group_size: 1
    .uses_dynamic_stack: false
    .vgpr_count:     10
    .vgpr_spill_count: 0
    .wavefront_size: 32
  - .args:
      - .address_space:  global
        .offset:         0
        .size:           8
        .value_kind:     global_buffer
      - .address_space:  global
        .offset:         8
        .size:           8
        .value_kind:     global_buffer
      - .offset:         16
        .size:           4
        .value_kind:     by_value
    .group_segment_fixed_size: 16384
    .kernarg_segment_align: 8
    .kernarg_segment_size: 20
    .language:       OpenCL C
    .language_version:
      - 2
      - 0
    .max_flat_workgroup_size: 1024
    .name:           _Z25warp_store_guarded_kernelILj1024ELj4ELj16ELN6hipcub18WarpStoreAlgorithmE3EiEvPT3_S3_i
    .private_segment_fixed_size: 0
    .sgpr_count:     8
    .sgpr_spill_count: 0
    .symbol:         _Z25warp_store_guarded_kernelILj1024ELj4ELj16ELN6hipcub18WarpStoreAlgorithmE3EiEvPT3_S3_i.kd
    .uniform_work_group_size: 1
    .uses_dynamic_stack: false
    .vgpr_count:     12
    .vgpr_spill_count: 0
    .wavefront_size: 32
  - .args:
      - .address_space:  global
        .offset:         0
        .size:           8
        .value_kind:     global_buffer
      - .address_space:  global
        .offset:         8
        .size:           8
        .value_kind:     global_buffer
      - .offset:         16
        .size:           4
        .value_kind:     by_value
    .group_segment_fixed_size: 0
    .kernarg_segment_align: 8
    .kernarg_segment_size: 20
    .language:       OpenCL C
    .language_version:
      - 2
      - 0
    .max_flat_workgroup_size: 1024
    .name:           _Z25warp_store_guarded_kernelILj1024ELj4ELj16ELN6hipcub18WarpStoreAlgorithmE2EiEvPT3_S3_i
    .private_segment_fixed_size: 0
    .sgpr_count:     10
    .sgpr_spill_count: 0
    .symbol:         _Z25warp_store_guarded_kernelILj1024ELj4ELj16ELN6hipcub18WarpStoreAlgorithmE2EiEvPT3_S3_i.kd
    .uniform_work_group_size: 1
    .uses_dynamic_stack: false
    .vgpr_count:     10
    .vgpr_spill_count: 0
    .wavefront_size: 32
  - .args:
      - .address_space:  global
        .offset:         0
        .size:           8
        .value_kind:     global_buffer
      - .address_space:  global
        .offset:         8
        .size:           8
        .value_kind:     global_buffer
      - .offset:         16
        .size:           4
        .value_kind:     by_value
    .group_segment_fixed_size: 0
    .kernarg_segment_align: 8
    .kernarg_segment_size: 20
    .language:       OpenCL C
    .language_version:
      - 2
      - 0
    .max_flat_workgroup_size: 1024
    .name:           _Z25warp_store_guarded_kernelILj1024ELj4ELj16ELN6hipcub18WarpStoreAlgorithmE1EiEvPT3_S3_i
    .private_segment_fixed_size: 0
    .sgpr_count:     10
    .sgpr_spill_count: 0
    .symbol:         _Z25warp_store_guarded_kernelILj1024ELj4ELj16ELN6hipcub18WarpStoreAlgorithmE1EiEvPT3_S3_i.kd
    .uniform_work_group_size: 1
    .uses_dynamic_stack: false
    .vgpr_count:     10
    .vgpr_spill_count: 0
    .wavefront_size: 32
  - .args:
      - .address_space:  global
        .offset:         0
        .size:           8
        .value_kind:     global_buffer
      - .address_space:  global
        .offset:         8
        .size:           8
        .value_kind:     global_buffer
      - .offset:         16
        .size:           4
        .value_kind:     by_value
    .group_segment_fixed_size: 0
    .kernarg_segment_align: 8
    .kernarg_segment_size: 20
    .language:       OpenCL C
    .language_version:
      - 2
      - 0
    .max_flat_workgroup_size: 1024
    .name:           _Z25warp_store_guarded_kernelILj1024ELj4ELj16ELN6hipcub18WarpStoreAlgorithmE0EiEvPT3_S3_i
    .private_segment_fixed_size: 0
    .sgpr_count:     10
    .sgpr_spill_count: 0
    .symbol:         _Z25warp_store_guarded_kernelILj1024ELj4ELj16ELN6hipcub18WarpStoreAlgorithmE0EiEvPT3_S3_i.kd
    .uniform_work_group_size: 1
    .uses_dynamic_stack: false
    .vgpr_count:     10
    .vgpr_spill_count: 0
    .wavefront_size: 32
  - .args:
      - .address_space:  global
        .offset:         0
        .size:           8
        .value_kind:     global_buffer
      - .address_space:  global
        .offset:         8
        .size:           8
        .value_kind:     global_buffer
      - .offset:         16
        .size:           4
        .value_kind:     by_value
    .group_segment_fixed_size: 16384
    .kernarg_segment_align: 8
    .kernarg_segment_size: 20
    .language:       OpenCL C
    .language_version:
      - 2
      - 0
    .max_flat_workgroup_size: 1024
    .name:           _Z25warp_store_guarded_kernelILj1024ELj4ELj1ELN6hipcub18WarpStoreAlgorithmE3EiEvPT3_S3_i
    .private_segment_fixed_size: 0
    .sgpr_count:     8
    .sgpr_spill_count: 0
    .symbol:         _Z25warp_store_guarded_kernelILj1024ELj4ELj1ELN6hipcub18WarpStoreAlgorithmE3EiEvPT3_S3_i.kd
    .uniform_work_group_size: 1
    .uses_dynamic_stack: false
    .vgpr_count:     8
    .vgpr_spill_count: 0
    .wavefront_size: 32
  - .args:
      - .address_space:  global
        .offset:         0
        .size:           8
        .value_kind:     global_buffer
      - .address_space:  global
        .offset:         8
        .size:           8
        .value_kind:     global_buffer
      - .offset:         16
        .size:           4
        .value_kind:     by_value
    .group_segment_fixed_size: 0
    .kernarg_segment_align: 8
    .kernarg_segment_size: 20
    .language:       OpenCL C
    .language_version:
      - 2
      - 0
    .max_flat_workgroup_size: 1024
    .name:           _Z25warp_store_guarded_kernelILj1024ELj4ELj1ELN6hipcub18WarpStoreAlgorithmE2EiEvPT3_S3_i
    .private_segment_fixed_size: 0
    .sgpr_count:     8
    .sgpr_spill_count: 0
    .symbol:         _Z25warp_store_guarded_kernelILj1024ELj4ELj1ELN6hipcub18WarpStoreAlgorithmE2EiEvPT3_S3_i.kd
    .uniform_work_group_size: 1
    .uses_dynamic_stack: false
    .vgpr_count:     8
    .vgpr_spill_count: 0
    .wavefront_size: 32
  - .args:
      - .address_space:  global
        .offset:         0
        .size:           8
        .value_kind:     global_buffer
      - .address_space:  global
        .offset:         8
        .size:           8
        .value_kind:     global_buffer
      - .offset:         16
        .size:           4
        .value_kind:     by_value
    .group_segment_fixed_size: 0
    .kernarg_segment_align: 8
    .kernarg_segment_size: 20
    .language:       OpenCL C
    .language_version:
      - 2
      - 0
    .max_flat_workgroup_size: 1024
    .name:           _Z25warp_store_guarded_kernelILj1024ELj4ELj1ELN6hipcub18WarpStoreAlgorithmE1EiEvPT3_S3_i
    .private_segment_fixed_size: 0
    .sgpr_count:     8
    .sgpr_spill_count: 0
    .symbol:         _Z25warp_store_guarded_kernelILj1024ELj4ELj1ELN6hipcub18WarpStoreAlgorithmE1EiEvPT3_S3_i.kd
    .uniform_work_group_size: 1
    .uses_dynamic_stack: false
    .vgpr_count:     8
    .vgpr_spill_count: 0
    .wavefront_size: 32
  - .args:
      - .address_space:  global
        .offset:         0
        .size:           8
        .value_kind:     global_buffer
      - .address_space:  global
        .offset:         8
        .size:           8
        .value_kind:     global_buffer
      - .offset:         16
        .size:           4
        .value_kind:     by_value
    .group_segment_fixed_size: 0
    .kernarg_segment_align: 8
    .kernarg_segment_size: 20
    .language:       OpenCL C
    .language_version:
      - 2
      - 0
    .max_flat_workgroup_size: 1024
    .name:           _Z25warp_store_guarded_kernelILj1024ELj4ELj1ELN6hipcub18WarpStoreAlgorithmE0EiEvPT3_S3_i
    .private_segment_fixed_size: 0
    .sgpr_count:     8
    .sgpr_spill_count: 0
    .symbol:         _Z25warp_store_guarded_kernelILj1024ELj4ELj1ELN6hipcub18WarpStoreAlgorithmE0EiEvPT3_S3_i.kd
    .uniform_work_group_size: 1
    .uses_dynamic_stack: false
    .vgpr_count:     8
    .vgpr_spill_count: 0
    .wavefront_size: 32
amdhsa.target:   amdgcn-amd-amdhsa--gfx1250
amdhsa.version:
  - 1
  - 2
...

	.end_amdgpu_metadata
